;; amdgpu-corpus repo=triton-lang/triton kind=triton arch=gfx950 opt=O3 lang=triton
	.amdgcn_target "amdgcn-amd-amdhsa--gfx950"
	.amdhsa_code_object_version 5
	.text
	.globl	attention_fwd_kernel            ; -- Begin function attention_fwd_kernel
	.p2align	8
	.type	attention_fwd_kernel,@function
attention_fwd_kernel:                   ; @attention_fwd_kernel
.Lfunc_begin0:
	.cfi_sections .debug_frame
	.cfi_startproc
; %bb.313:
	.file	1 "/root/src/amdgpu-assembly/repos/triton-lang__triton-aot" "attention_fwd.py"
	.loc	1 8 0 prologue_end              ; attention_fwd.py:8:0
	s_load_dwordx2 s[2:3], s[0:1], 0x0
	s_load_dwordx8 s[4:11], s[0:1], 0x8
	s_load_dwordx4 s[12:15], s[0:1], 0x28
	s_waitcnt lgkmcnt(0)
	s_branch .LBB0_0
	.loc	1 0 0 is_stmt 0                 ; :0:0
.Ltmp0:
	.p2align	8
; %bb.314:
.LBB0_0:
	s_load_dword s33, s[0:1], 0x44
	s_mov_b64 s[62:63], s[0:1]
.Ltmp1:
	.loc	1 48 16 is_stmt 1               ; attention_fwd.py:48:16
	v_readfirstlane_b32 s0, v0
	.loc	1 17 23                         ; attention_fwd.py:17:23
	s_lshl_b32 s99, s16, 6
	.loc	1 17 46 is_stmt 0               ; attention_fwd.py:17:46
	v_and_b32_e32 v4, 63, v0
	s_bfe_u32 s64, s0, 0x20006
                                        ; implicit-def: $vgpr197 : SGPR spill to VGPR lane
	.loc	1 17 33                         ; attention_fwd.py:17:33
	s_or_b32 s1, s64, s99
	.loc	1 20 65 is_stmt 1               ; attention_fwd.py:20:65
	v_mul_lo_u32 v2, s12, v4
	v_writelane_b32 v197, s8, 0
	.loc	1 21 47                         ; attention_fwd.py:21:47
	s_waitcnt lgkmcnt(0)
	s_cmp_ge_i32 s1, s33
	.loc	1 20 47                         ; attention_fwd.py:20:47
	v_ashrrev_i32_e32 v3, 31, v2
	v_writelane_b32 v197, s9, 1
	.loc	1 21 16                         ; attention_fwd.py:21:16
	s_cbranch_scc1 .LBB0_16
; %bb.1:
	.loc	1 0 16 is_stmt 0                ; attention_fwd.py:0:16
	s_mul_i32 s8, s1, s11
	s_ashr_i32 s9, s8, 31
	s_lshl_b64 s[8:9], s[8:9], 1
	s_add_u32 s8, s2, s8
	s_addc_u32 s9, s3, s9
	v_lshl_add_u64 v[6:7], v[2:3], 1, s[8:9]
	.loc	1 21 16                         ; attention_fwd.py:21:16
	global_load_ushort v5, v[6:7], off
	.loc	1 17 46 is_stmt 1               ; attention_fwd.py:17:46
	s_or_b32 s12, s64, 4
	.loc	1 17 33 is_stmt 0               ; attention_fwd.py:17:33
	s_or_b32 s1, s12, s99
	.loc	1 21 47 is_stmt 1               ; attention_fwd.py:21:47
	s_cmp_ge_i32 s1, s33
	.loc	1 21 16 is_stmt 0               ; attention_fwd.py:21:16
	s_cbranch_scc0 .LBB0_17
.LBB0_2:
	.loc	1 0 16                          ; attention_fwd.py:0:16
	v_mov_b32_e32 v6, 0
	.loc	1 17 46 is_stmt 1               ; attention_fwd.py:17:46
	s_or_b32 s48, s64, 8
	.loc	1 17 33 is_stmt 0               ; attention_fwd.py:17:33
	s_or_b32 s1, s48, s99
	.loc	1 21 47 is_stmt 1               ; attention_fwd.py:21:47
	s_cmp_ge_i32 s1, s33
	.loc	1 21 16 is_stmt 0               ; attention_fwd.py:21:16
	s_cbranch_scc0 .LBB0_18
.LBB0_3:
	.loc	1 0 16                          ; attention_fwd.py:0:16
	v_mov_b32_e32 v7, 0
	.loc	1 17 46 is_stmt 1               ; attention_fwd.py:17:46
	s_or_b32 s49, s64, 12
	.loc	1 17 33 is_stmt 0               ; attention_fwd.py:17:33
	s_or_b32 s1, s49, s99
	.loc	1 21 47 is_stmt 1               ; attention_fwd.py:21:47
	s_cmp_ge_i32 s1, s33
	.loc	1 21 16 is_stmt 0               ; attention_fwd.py:21:16
	s_cbranch_scc0 .LBB0_19
.LBB0_4:
	.loc	1 0 16                          ; attention_fwd.py:0:16
	v_mov_b32_e32 v8, 0
	.loc	1 17 46 is_stmt 1               ; attention_fwd.py:17:46
	s_or_b32 s50, s64, 16
	.loc	1 17 33 is_stmt 0               ; attention_fwd.py:17:33
	s_or_b32 s1, s50, s99
	.loc	1 21 47 is_stmt 1               ; attention_fwd.py:21:47
	s_cmp_ge_i32 s1, s33
	.loc	1 21 16 is_stmt 0               ; attention_fwd.py:21:16
	s_cbranch_scc0 .LBB0_20
.LBB0_5:
	.loc	1 0 16                          ; attention_fwd.py:0:16
	v_mov_b32_e32 v9, 0
	.loc	1 17 46 is_stmt 1               ; attention_fwd.py:17:46
	s_or_b32 s51, s64, 20
	.loc	1 17 33 is_stmt 0               ; attention_fwd.py:17:33
	s_or_b32 s1, s51, s99
	.loc	1 21 47 is_stmt 1               ; attention_fwd.py:21:47
	s_cmp_ge_i32 s1, s33
	.loc	1 21 16 is_stmt 0               ; attention_fwd.py:21:16
	s_cbranch_scc0 .LBB0_21
.LBB0_6:
	.loc	1 0 16                          ; attention_fwd.py:0:16
	v_mov_b32_e32 v10, 0
	.loc	1 17 46 is_stmt 1               ; attention_fwd.py:17:46
	s_or_b32 s52, s64, 24
	.loc	1 17 33 is_stmt 0               ; attention_fwd.py:17:33
	s_or_b32 s1, s52, s99
	.loc	1 21 47 is_stmt 1               ; attention_fwd.py:21:47
	s_cmp_ge_i32 s1, s33
	.loc	1 21 16 is_stmt 0               ; attention_fwd.py:21:16
	s_cbranch_scc0 .LBB0_22
.LBB0_7:
	.loc	1 0 16                          ; attention_fwd.py:0:16
	v_mov_b32_e32 v11, 0
	.loc	1 17 46 is_stmt 1               ; attention_fwd.py:17:46
	s_or_b32 s53, s64, 28
	.loc	1 17 33 is_stmt 0               ; attention_fwd.py:17:33
	s_or_b32 s1, s53, s99
	.loc	1 21 47 is_stmt 1               ; attention_fwd.py:21:47
	s_cmp_ge_i32 s1, s33
	.loc	1 21 16 is_stmt 0               ; attention_fwd.py:21:16
	s_cbranch_scc0 .LBB0_23
.LBB0_8:
	.loc	1 0 16                          ; attention_fwd.py:0:16
	v_mov_b32_e32 v12, 0
	.loc	1 17 46 is_stmt 1               ; attention_fwd.py:17:46
	s_or_b32 s54, s64, 32
	.loc	1 17 33 is_stmt 0               ; attention_fwd.py:17:33
	s_or_b32 s1, s54, s99
	.loc	1 21 47 is_stmt 1               ; attention_fwd.py:21:47
	s_cmp_ge_i32 s1, s33
	.loc	1 21 16 is_stmt 0               ; attention_fwd.py:21:16
	s_cbranch_scc0 .LBB0_24
.LBB0_9:
	.loc	1 0 16                          ; attention_fwd.py:0:16
	v_mov_b32_e32 v13, 0
	.loc	1 17 46 is_stmt 1               ; attention_fwd.py:17:46
	s_or_b32 s55, s64, 36
	.loc	1 17 33 is_stmt 0               ; attention_fwd.py:17:33
	s_or_b32 s1, s55, s99
	.loc	1 21 47 is_stmt 1               ; attention_fwd.py:21:47
	s_cmp_ge_i32 s1, s33
	.loc	1 21 16 is_stmt 0               ; attention_fwd.py:21:16
	s_cbranch_scc0 .LBB0_25
.LBB0_10:
	.loc	1 0 16                          ; attention_fwd.py:0:16
	v_mov_b32_e32 v14, 0
	.loc	1 17 46 is_stmt 1               ; attention_fwd.py:17:46
	s_or_b32 s56, s64, 40
	.loc	1 17 33 is_stmt 0               ; attention_fwd.py:17:33
	s_or_b32 s1, s56, s99
	.loc	1 21 47 is_stmt 1               ; attention_fwd.py:21:47
	s_cmp_ge_i32 s1, s33
	.loc	1 21 16 is_stmt 0               ; attention_fwd.py:21:16
	s_cbranch_scc0 .LBB0_26
.LBB0_11:
	.loc	1 0 16                          ; attention_fwd.py:0:16
	v_mov_b32_e32 v15, 0
	.loc	1 17 46 is_stmt 1               ; attention_fwd.py:17:46
	s_or_b32 s57, s64, 44
	.loc	1 17 33 is_stmt 0               ; attention_fwd.py:17:33
	s_or_b32 s1, s57, s99
	.loc	1 21 47 is_stmt 1               ; attention_fwd.py:21:47
	s_cmp_ge_i32 s1, s33
	.loc	1 21 16 is_stmt 0               ; attention_fwd.py:21:16
	s_cbranch_scc0 .LBB0_27
.LBB0_12:
	.loc	1 0 16                          ; attention_fwd.py:0:16
	v_mov_b32_e32 v16, 0
	.loc	1 17 46 is_stmt 1               ; attention_fwd.py:17:46
	s_or_b32 s58, s64, 48
	.loc	1 17 33 is_stmt 0               ; attention_fwd.py:17:33
	s_or_b32 s1, s58, s99
	.loc	1 21 47 is_stmt 1               ; attention_fwd.py:21:47
	s_cmp_ge_i32 s1, s33
	.loc	1 21 16 is_stmt 0               ; attention_fwd.py:21:16
	s_cbranch_scc0 .LBB0_28
.LBB0_13:
	.loc	1 0 16                          ; attention_fwd.py:0:16
	v_mov_b32_e32 v17, 0
	.loc	1 17 46 is_stmt 1               ; attention_fwd.py:17:46
	s_or_b32 s59, s64, 52
	.loc	1 17 33 is_stmt 0               ; attention_fwd.py:17:33
	s_or_b32 s1, s59, s99
	.loc	1 21 47 is_stmt 1               ; attention_fwd.py:21:47
	s_cmp_ge_i32 s1, s33
	.loc	1 21 16 is_stmt 0               ; attention_fwd.py:21:16
	s_cbranch_scc0 .LBB0_29
.LBB0_14:
	.loc	1 0 16                          ; attention_fwd.py:0:16
	v_mov_b32_e32 v18, 0
	.loc	1 17 46 is_stmt 1               ; attention_fwd.py:17:46
	s_or_b32 s60, s64, 56
	.loc	1 17 33 is_stmt 0               ; attention_fwd.py:17:33
	s_or_b32 s1, s60, s99
	.loc	1 21 47 is_stmt 1               ; attention_fwd.py:21:47
	s_cmp_ge_i32 s1, s33
	.loc	1 21 16 is_stmt 0               ; attention_fwd.py:21:16
	s_cbranch_scc0 .LBB0_30
.LBB0_15:
	.loc	1 0 16                          ; attention_fwd.py:0:16
	v_mov_b32_e32 v19, 0
	.loc	1 21 16                         ; attention_fwd.py:21:16
	s_branch .LBB0_31
.LBB0_16:
	.loc	1 0 16                          ; attention_fwd.py:0:16
	v_mov_b32_e32 v5, 0
	.loc	1 17 46 is_stmt 1               ; attention_fwd.py:17:46
	s_or_b32 s12, s64, 4
	.loc	1 17 33 is_stmt 0               ; attention_fwd.py:17:33
	s_or_b32 s1, s12, s99
	.loc	1 21 47 is_stmt 1               ; attention_fwd.py:21:47
	s_cmp_ge_i32 s1, s33
	.loc	1 21 16 is_stmt 0               ; attention_fwd.py:21:16
	s_cbranch_scc1 .LBB0_2
.LBB0_17:
	.loc	1 20 35 is_stmt 1               ; attention_fwd.py:20:35
	s_mul_i32 s8, s1, s11
	.loc	1 20 17 is_stmt 0               ; attention_fwd.py:20:17
	s_ashr_i32 s9, s8, 31
	s_lshl_b64 s[8:9], s[8:9], 1
	s_add_u32 s8, s2, s8
	s_addc_u32 s9, s3, s9
	.loc	1 20 47                         ; attention_fwd.py:20:47
	v_lshl_add_u64 v[6:7], v[2:3], 1, s[8:9]
	.loc	1 21 16 is_stmt 1               ; attention_fwd.py:21:16
	global_load_ushort v6, v[6:7], off
	.loc	1 17 46                         ; attention_fwd.py:17:46
	s_or_b32 s48, s64, 8
	.loc	1 17 33 is_stmt 0               ; attention_fwd.py:17:33
	s_or_b32 s1, s48, s99
	.loc	1 21 47 is_stmt 1               ; attention_fwd.py:21:47
	s_cmp_ge_i32 s1, s33
	.loc	1 21 16 is_stmt 0               ; attention_fwd.py:21:16
	s_cbranch_scc1 .LBB0_3
.LBB0_18:
	.loc	1 20 35 is_stmt 1               ; attention_fwd.py:20:35
	s_mul_i32 s8, s1, s11
	.loc	1 20 17 is_stmt 0               ; attention_fwd.py:20:17
	s_ashr_i32 s9, s8, 31
	s_lshl_b64 s[8:9], s[8:9], 1
	s_add_u32 s8, s2, s8
	s_addc_u32 s9, s3, s9
	.loc	1 20 47                         ; attention_fwd.py:20:47
	v_lshl_add_u64 v[8:9], v[2:3], 1, s[8:9]
	.loc	1 21 16 is_stmt 1               ; attention_fwd.py:21:16
	global_load_ushort v7, v[8:9], off
	.loc	1 17 46                         ; attention_fwd.py:17:46
	s_or_b32 s49, s64, 12
	.loc	1 17 33 is_stmt 0               ; attention_fwd.py:17:33
	s_or_b32 s1, s49, s99
	.loc	1 21 47 is_stmt 1               ; attention_fwd.py:21:47
	s_cmp_ge_i32 s1, s33
	.loc	1 21 16 is_stmt 0               ; attention_fwd.py:21:16
	s_cbranch_scc1 .LBB0_4
.LBB0_19:
	.loc	1 20 35 is_stmt 1               ; attention_fwd.py:20:35
	s_mul_i32 s8, s1, s11
	.loc	1 20 17 is_stmt 0               ; attention_fwd.py:20:17
	s_ashr_i32 s9, s8, 31
	s_lshl_b64 s[8:9], s[8:9], 1
	s_add_u32 s8, s2, s8
	s_addc_u32 s9, s3, s9
	.loc	1 20 47                         ; attention_fwd.py:20:47
	v_lshl_add_u64 v[8:9], v[2:3], 1, s[8:9]
	.loc	1 21 16 is_stmt 1               ; attention_fwd.py:21:16
	global_load_ushort v8, v[8:9], off
	.loc	1 17 46                         ; attention_fwd.py:17:46
	s_or_b32 s50, s64, 16
	.loc	1 17 33 is_stmt 0               ; attention_fwd.py:17:33
	s_or_b32 s1, s50, s99
	.loc	1 21 47 is_stmt 1               ; attention_fwd.py:21:47
	s_cmp_ge_i32 s1, s33
	.loc	1 21 16 is_stmt 0               ; attention_fwd.py:21:16
	s_cbranch_scc1 .LBB0_5
.LBB0_20:
	.loc	1 20 35 is_stmt 1               ; attention_fwd.py:20:35
	s_mul_i32 s8, s1, s11
	.loc	1 20 17 is_stmt 0               ; attention_fwd.py:20:17
	s_ashr_i32 s9, s8, 31
	s_lshl_b64 s[8:9], s[8:9], 1
	s_add_u32 s8, s2, s8
	s_addc_u32 s9, s3, s9
	.loc	1 20 47                         ; attention_fwd.py:20:47
	v_lshl_add_u64 v[10:11], v[2:3], 1, s[8:9]
	.loc	1 21 16 is_stmt 1               ; attention_fwd.py:21:16
	global_load_ushort v9, v[10:11], off
	.loc	1 17 46                         ; attention_fwd.py:17:46
	s_or_b32 s51, s64, 20
	.loc	1 17 33 is_stmt 0               ; attention_fwd.py:17:33
	s_or_b32 s1, s51, s99
	.loc	1 21 47 is_stmt 1               ; attention_fwd.py:21:47
	s_cmp_ge_i32 s1, s33
	.loc	1 21 16 is_stmt 0               ; attention_fwd.py:21:16
	s_cbranch_scc1 .LBB0_6
.LBB0_21:
	.loc	1 20 35 is_stmt 1               ; attention_fwd.py:20:35
	s_mul_i32 s8, s1, s11
	.loc	1 20 17 is_stmt 0               ; attention_fwd.py:20:17
	s_ashr_i32 s9, s8, 31
	s_lshl_b64 s[8:9], s[8:9], 1
	s_add_u32 s8, s2, s8
	s_addc_u32 s9, s3, s9
	.loc	1 20 47                         ; attention_fwd.py:20:47
	v_lshl_add_u64 v[10:11], v[2:3], 1, s[8:9]
	.loc	1 21 16 is_stmt 1               ; attention_fwd.py:21:16
	global_load_ushort v10, v[10:11], off
	.loc	1 17 46                         ; attention_fwd.py:17:46
	s_or_b32 s52, s64, 24
	.loc	1 17 33 is_stmt 0               ; attention_fwd.py:17:33
	s_or_b32 s1, s52, s99
	.loc	1 21 47 is_stmt 1               ; attention_fwd.py:21:47
	s_cmp_ge_i32 s1, s33
	.loc	1 21 16 is_stmt 0               ; attention_fwd.py:21:16
	s_cbranch_scc1 .LBB0_7
.LBB0_22:
	.loc	1 20 35 is_stmt 1               ; attention_fwd.py:20:35
	s_mul_i32 s8, s1, s11
	.loc	1 20 17 is_stmt 0               ; attention_fwd.py:20:17
	s_ashr_i32 s9, s8, 31
	s_lshl_b64 s[8:9], s[8:9], 1
	s_add_u32 s8, s2, s8
	s_addc_u32 s9, s3, s9
	.loc	1 20 47                         ; attention_fwd.py:20:47
	v_lshl_add_u64 v[12:13], v[2:3], 1, s[8:9]
	.loc	1 21 16 is_stmt 1               ; attention_fwd.py:21:16
	global_load_ushort v11, v[12:13], off
	.loc	1 17 46                         ; attention_fwd.py:17:46
	s_or_b32 s53, s64, 28
	.loc	1 17 33 is_stmt 0               ; attention_fwd.py:17:33
	s_or_b32 s1, s53, s99
	.loc	1 21 47 is_stmt 1               ; attention_fwd.py:21:47
	s_cmp_ge_i32 s1, s33
	.loc	1 21 16 is_stmt 0               ; attention_fwd.py:21:16
	s_cbranch_scc1 .LBB0_8
.LBB0_23:
	.loc	1 20 35 is_stmt 1               ; attention_fwd.py:20:35
	s_mul_i32 s8, s1, s11
	.loc	1 20 17 is_stmt 0               ; attention_fwd.py:20:17
	s_ashr_i32 s9, s8, 31
	s_lshl_b64 s[8:9], s[8:9], 1
	s_add_u32 s8, s2, s8
	s_addc_u32 s9, s3, s9
	.loc	1 20 47                         ; attention_fwd.py:20:47
	v_lshl_add_u64 v[12:13], v[2:3], 1, s[8:9]
	.loc	1 21 16 is_stmt 1               ; attention_fwd.py:21:16
	global_load_ushort v12, v[12:13], off
	.loc	1 17 46                         ; attention_fwd.py:17:46
	s_or_b32 s54, s64, 32
	.loc	1 17 33 is_stmt 0               ; attention_fwd.py:17:33
	s_or_b32 s1, s54, s99
	.loc	1 21 47 is_stmt 1               ; attention_fwd.py:21:47
	s_cmp_ge_i32 s1, s33
	.loc	1 21 16 is_stmt 0               ; attention_fwd.py:21:16
	s_cbranch_scc1 .LBB0_9
.LBB0_24:
	.loc	1 20 35 is_stmt 1               ; attention_fwd.py:20:35
	s_mul_i32 s8, s1, s11
	.loc	1 20 17 is_stmt 0               ; attention_fwd.py:20:17
	s_ashr_i32 s9, s8, 31
	s_lshl_b64 s[8:9], s[8:9], 1
	s_add_u32 s8, s2, s8
	s_addc_u32 s9, s3, s9
	.loc	1 20 47                         ; attention_fwd.py:20:47
	v_lshl_add_u64 v[14:15], v[2:3], 1, s[8:9]
	.loc	1 21 16 is_stmt 1               ; attention_fwd.py:21:16
	global_load_ushort v13, v[14:15], off
	.loc	1 17 46                         ; attention_fwd.py:17:46
	s_or_b32 s55, s64, 36
	.loc	1 17 33 is_stmt 0               ; attention_fwd.py:17:33
	s_or_b32 s1, s55, s99
	.loc	1 21 47 is_stmt 1               ; attention_fwd.py:21:47
	s_cmp_ge_i32 s1, s33
	.loc	1 21 16 is_stmt 0               ; attention_fwd.py:21:16
	s_cbranch_scc1 .LBB0_10
.LBB0_25:
	.loc	1 20 35 is_stmt 1               ; attention_fwd.py:20:35
	s_mul_i32 s8, s1, s11
	.loc	1 20 17 is_stmt 0               ; attention_fwd.py:20:17
	s_ashr_i32 s9, s8, 31
	s_lshl_b64 s[8:9], s[8:9], 1
	s_add_u32 s8, s2, s8
	s_addc_u32 s9, s3, s9
	.loc	1 20 47                         ; attention_fwd.py:20:47
	v_lshl_add_u64 v[14:15], v[2:3], 1, s[8:9]
	.loc	1 21 16 is_stmt 1               ; attention_fwd.py:21:16
	global_load_ushort v14, v[14:15], off
	.loc	1 17 46                         ; attention_fwd.py:17:46
	s_or_b32 s56, s64, 40
	.loc	1 17 33 is_stmt 0               ; attention_fwd.py:17:33
	s_or_b32 s1, s56, s99
	.loc	1 21 47 is_stmt 1               ; attention_fwd.py:21:47
	s_cmp_ge_i32 s1, s33
	.loc	1 21 16 is_stmt 0               ; attention_fwd.py:21:16
	s_cbranch_scc1 .LBB0_11
.LBB0_26:
	.loc	1 20 35 is_stmt 1               ; attention_fwd.py:20:35
	s_mul_i32 s8, s1, s11
	.loc	1 20 17 is_stmt 0               ; attention_fwd.py:20:17
	s_ashr_i32 s9, s8, 31
	s_lshl_b64 s[8:9], s[8:9], 1
	s_add_u32 s8, s2, s8
	s_addc_u32 s9, s3, s9
	.loc	1 20 47                         ; attention_fwd.py:20:47
	v_lshl_add_u64 v[16:17], v[2:3], 1, s[8:9]
	.loc	1 21 16 is_stmt 1               ; attention_fwd.py:21:16
	global_load_ushort v15, v[16:17], off
	.loc	1 17 46                         ; attention_fwd.py:17:46
	s_or_b32 s57, s64, 44
	.loc	1 17 33 is_stmt 0               ; attention_fwd.py:17:33
	s_or_b32 s1, s57, s99
	.loc	1 21 47 is_stmt 1               ; attention_fwd.py:21:47
	s_cmp_ge_i32 s1, s33
	.loc	1 21 16 is_stmt 0               ; attention_fwd.py:21:16
	s_cbranch_scc1 .LBB0_12
.LBB0_27:
	.loc	1 20 35 is_stmt 1               ; attention_fwd.py:20:35
	s_mul_i32 s8, s1, s11
	.loc	1 20 17 is_stmt 0               ; attention_fwd.py:20:17
	s_ashr_i32 s9, s8, 31
	s_lshl_b64 s[8:9], s[8:9], 1
	s_add_u32 s8, s2, s8
	s_addc_u32 s9, s3, s9
	.loc	1 20 47                         ; attention_fwd.py:20:47
	v_lshl_add_u64 v[16:17], v[2:3], 1, s[8:9]
	.loc	1 21 16 is_stmt 1               ; attention_fwd.py:21:16
	global_load_ushort v16, v[16:17], off
	.loc	1 17 46                         ; attention_fwd.py:17:46
	s_or_b32 s58, s64, 48
	.loc	1 17 33 is_stmt 0               ; attention_fwd.py:17:33
	s_or_b32 s1, s58, s99
	.loc	1 21 47 is_stmt 1               ; attention_fwd.py:21:47
	s_cmp_ge_i32 s1, s33
	.loc	1 21 16 is_stmt 0               ; attention_fwd.py:21:16
	s_cbranch_scc1 .LBB0_13
.LBB0_28:
	.loc	1 20 35 is_stmt 1               ; attention_fwd.py:20:35
	s_mul_i32 s8, s1, s11
	.loc	1 20 17 is_stmt 0               ; attention_fwd.py:20:17
	s_ashr_i32 s9, s8, 31
	s_lshl_b64 s[8:9], s[8:9], 1
	s_add_u32 s8, s2, s8
	s_addc_u32 s9, s3, s9
	.loc	1 20 47                         ; attention_fwd.py:20:47
	v_lshl_add_u64 v[18:19], v[2:3], 1, s[8:9]
	.loc	1 21 16 is_stmt 1               ; attention_fwd.py:21:16
	global_load_ushort v17, v[18:19], off
	.loc	1 17 46                         ; attention_fwd.py:17:46
	s_or_b32 s59, s64, 52
	.loc	1 17 33 is_stmt 0               ; attention_fwd.py:17:33
	s_or_b32 s1, s59, s99
	.loc	1 21 47 is_stmt 1               ; attention_fwd.py:21:47
	s_cmp_ge_i32 s1, s33
	.loc	1 21 16 is_stmt 0               ; attention_fwd.py:21:16
	s_cbranch_scc1 .LBB0_14
.LBB0_29:
	.loc	1 20 35 is_stmt 1               ; attention_fwd.py:20:35
	s_mul_i32 s8, s1, s11
	.loc	1 20 17 is_stmt 0               ; attention_fwd.py:20:17
	s_ashr_i32 s9, s8, 31
	s_lshl_b64 s[8:9], s[8:9], 1
	s_add_u32 s8, s2, s8
	s_addc_u32 s9, s3, s9
	.loc	1 20 47                         ; attention_fwd.py:20:47
	v_lshl_add_u64 v[18:19], v[2:3], 1, s[8:9]
	.loc	1 21 16 is_stmt 1               ; attention_fwd.py:21:16
	global_load_ushort v18, v[18:19], off
	.loc	1 17 46                         ; attention_fwd.py:17:46
	s_or_b32 s60, s64, 56
	.loc	1 17 33 is_stmt 0               ; attention_fwd.py:17:33
	s_or_b32 s1, s60, s99
	.loc	1 21 47 is_stmt 1               ; attention_fwd.py:21:47
	s_cmp_ge_i32 s1, s33
	.loc	1 21 16 is_stmt 0               ; attention_fwd.py:21:16
	s_cbranch_scc1 .LBB0_15
.LBB0_30:
	.loc	1 20 35 is_stmt 1               ; attention_fwd.py:20:35
	s_mul_i32 s8, s1, s11
	.loc	1 20 17 is_stmt 0               ; attention_fwd.py:20:17
	s_ashr_i32 s9, s8, 31
	s_lshl_b64 s[8:9], s[8:9], 1
	s_add_u32 s8, s2, s8
	s_addc_u32 s9, s3, s9
	.loc	1 20 47                         ; attention_fwd.py:20:47
	v_lshl_add_u64 v[20:21], v[2:3], 1, s[8:9]
	.loc	1 21 16 is_stmt 1               ; attention_fwd.py:21:16
	global_load_ushort v19, v[20:21], off
.LBB0_31:
	.loc	1 17 46                         ; attention_fwd.py:17:46
	s_or_b32 s61, s64, 60
	s_and_b32 s1, s0, 0xc0
	.loc	1 17 33 is_stmt 0               ; attention_fwd.py:17:33
	s_or_b32 s8, s61, s99
	.loc	1 21 47 is_stmt 1               ; attention_fwd.py:21:47
	s_cmp_ge_i32 s8, s33
	.loc	1 21 16 is_stmt 0               ; attention_fwd.py:21:16
	s_cbranch_scc1 .LBB0_33
; %bb.32:
	.loc	1 20 35 is_stmt 1               ; attention_fwd.py:20:35
	s_mul_i32 s8, s8, s11
	.loc	1 20 17 is_stmt 0               ; attention_fwd.py:20:17
	s_ashr_i32 s9, s8, 31
	s_lshl_b64 s[8:9], s[8:9], 1
	s_add_u32 s2, s2, s8
	s_addc_u32 s3, s3, s9
	.loc	1 20 47                         ; attention_fwd.py:20:47
	v_lshl_add_u64 v[2:3], v[2:3], 1, s[2:3]
	.loc	1 21 16 is_stmt 1               ; attention_fwd.py:21:16
	global_load_ushort v3, v[2:3], off
	s_branch .LBB0_34
.LBB0_33:
	.loc	1 0 16 is_stmt 0                ; attention_fwd.py:0:16
	v_mov_b32_e32 v3, 0
.LBB0_34:
	.loc	1 17 46 is_stmt 1               ; attention_fwd.py:17:46
	s_and_b32 s91, s0, 64
	s_and_b32 s90, s0, 0x80
	s_bfe_i32 s2, s0, 0x10007
	v_or_b32_e32 v55, s1, v4
	s_cmp_eq_u32 s90, 0
	s_cselect_b64 s[0:1], -1, 0
	.loc	1 21 16                         ; attention_fwd.py:21:16
	v_lshlrev_b32_e32 v2, 1, v55
	s_and_b32 s2, s2, 0x110
	v_mov_b32_e32 v20, 0xfe
	v_bitop3_b32 v20, v2, s2, v20 bitop3:0x6c
	v_add_u32_e32 v60, 0, v20
	s_waitcnt vmcnt(0)
	ds_write_b16 v60, v5
	ds_write_b16 v60, v9 offset:2048
	ds_write_b16 v60, v13 offset:4096
	;; [unrolled: 1-line block ×3, first 2 shown]
	v_xor_b32_e32 v5, 32, v20
	v_add_u32_e32 v61, 0, v5
	v_xor_b32_e32 v5, 64, v20
	.loc	1 17 46                         ; attention_fwd.py:17:46
	v_and_b32_e32 v1, 32, v0
	.loc	1 21 16                         ; attention_fwd.py:21:16
	v_add_u32_e32 v62, 0, v5
	v_xor_b32_e32 v5, 0x60, v20
	v_lshlrev_b32_e32 v56, 3, v0
	.loc	1 17 46                         ; attention_fwd.py:17:46
	v_and_b32_e32 v54, 31, v0
	.loc	1 21 16                         ; attention_fwd.py:21:16
	v_add_u32_e32 v63, 0, v5
	v_and_b32_e32 v58, 0x70, v56
	v_lshrrev_b32_e32 v59, 1, v1
	s_lshl_b32 s3, s91, 6
	ds_write_b16 v63, v8 offset:1536
	ds_write_b16 v63, v12 offset:3584
	;; [unrolled: 1-line block ×4, first 2 shown]
	v_lshlrev_b32_e32 v57, 7, v54
	v_bitop3_b32 v3, s3, v58, v59 bitop3:0xf6
	s_movk_i32 s2, 0x60
	v_or_b32_e32 v5, v3, v57
	ds_write_b16 v61, v6 offset:512
	ds_write_b16 v61, v10 offset:2560
	;; [unrolled: 1-line block ×8, first 2 shown]
	v_add_u32_e32 v6, 0, v5
	v_xad_u32 v7, v5, 32, 0
	v_xad_u32 v5, v5, 64, 0
	v_bitop3_b32 v3, v3, s2, v57 bitop3:0x36
	.loc	1 31 32                         ; attention_fwd.py:31:32
	s_cmp_lt_u32 s99, 0x7fffffc0
	.loc	1 21 16                         ; attention_fwd.py:21:16
	s_waitcnt lgkmcnt(0)
	s_barrier
	ds_read_b128 v[134:137], v6
	ds_read_b128 v[126:129], v7
	v_add_u32_e32 v3, 0, v3
	ds_read_b128 v[138:141], v5
	ds_read_b128 v[130:133], v3
	.loc	1 31 32                         ; attention_fwd.py:31:32
	s_cselect_b64 s[8:9], -1, 0
	.loc	1 34 51                         ; attention_fwd.py:34:51
	s_cmp_lt_i32 s64, s33
	s_cselect_b64 s[2:3], -1, 0
	.loc	1 31 32                         ; attention_fwd.py:31:32
	s_and_b64 s[16:17], s[8:9], s[2:3]
	.loc	1 33 69                         ; attention_fwd.py:33:69
	v_mul_lo_u32 v18, s14, v4
	.loc	1 34 20                         ; attention_fwd.py:34:20
	v_cndmask_b32_e64 v3, 0, 1, s[16:17]
	v_cmp_ne_u32_e64 s[2:3], 1, v3
	s_andn2_b64 vcc, exec, s[16:17]
	.loc	1 33 51                         ; attention_fwd.py:33:51
	v_ashrrev_i32_e32 v19, 31, v18
	.loc	1 34 20                         ; attention_fwd.py:34:20
	s_cbranch_vccnz .LBB0_36
; %bb.35:
	.loc	1 0 20 is_stmt 0                ; attention_fwd.py:0:20
	s_mul_i32 s16, s64, s13
	s_ashr_i32 s17, s16, 31
	s_lshl_b64 s[16:17], s[16:17], 1
	s_add_u32 s16, s4, s16
	s_addc_u32 s17, s5, s17
	v_lshl_add_u64 v[6:7], v[18:19], 1, s[16:17]
	.loc	1 34 20                         ; attention_fwd.py:34:20
	global_load_ushort v3, v[6:7], off
	s_branch .LBB0_37
.LBB0_36:
	.loc	1 0 20                          ; attention_fwd.py:0:20
	v_mov_b32_e32 v3, 0
.LBB0_37:
	.loc	1 34 51 is_stmt 1               ; attention_fwd.py:34:51
	s_cmp_lt_i32 s12, s33
	s_cselect_b64 s[16:17], -1, 0
	.loc	1 31 32                         ; attention_fwd.py:31:32
	s_and_b64 s[16:17], s[8:9], s[16:17]
	.loc	1 34 20                         ; attention_fwd.py:34:20
	v_cndmask_b32_e64 v5, 0, 1, s[16:17]
	v_cmp_ne_u32_e64 s[42:43], 1, v5
	s_andn2_b64 vcc, exec, s[16:17]
	s_cbranch_vccnz .LBB0_39
; %bb.38:
	.loc	1 33 39                         ; attention_fwd.py:33:39
	s_mul_i32 s16, s12, s13
	.loc	1 33 21 is_stmt 0               ; attention_fwd.py:33:21
	s_ashr_i32 s17, s16, 31
	s_lshl_b64 s[16:17], s[16:17], 1
	s_add_u32 s16, s4, s16
	s_addc_u32 s17, s5, s17
	.loc	1 33 51                         ; attention_fwd.py:33:51
	v_lshl_add_u64 v[6:7], v[18:19], 1, s[16:17]
	.loc	1 34 20 is_stmt 1               ; attention_fwd.py:34:20
	global_load_ushort v5, v[6:7], off
	s_branch .LBB0_40
.LBB0_39:
	.loc	1 0 20 is_stmt 0                ; attention_fwd.py:0:20
	v_mov_b32_e32 v5, 0
.LBB0_40:
	.loc	1 34 51 is_stmt 1               ; attention_fwd.py:34:51
	s_cmp_lt_i32 s48, s33
	s_cselect_b64 s[16:17], -1, 0
	.loc	1 31 32                         ; attention_fwd.py:31:32
	s_and_b64 s[16:17], s[8:9], s[16:17]
	.loc	1 34 20                         ; attention_fwd.py:34:20
	v_cndmask_b32_e64 v6, 0, 1, s[16:17]
	v_cmp_ne_u32_e64 s[46:47], 1, v6
	s_andn2_b64 vcc, exec, s[16:17]
	s_cbranch_vccnz .LBB0_42
; %bb.41:
	.loc	1 33 39                         ; attention_fwd.py:33:39
	s_mul_i32 s16, s48, s13
	.loc	1 33 21 is_stmt 0               ; attention_fwd.py:33:21
	s_ashr_i32 s17, s16, 31
	s_lshl_b64 s[16:17], s[16:17], 1
	s_add_u32 s16, s4, s16
	s_addc_u32 s17, s5, s17
	.loc	1 33 51                         ; attention_fwd.py:33:51
	v_lshl_add_u64 v[6:7], v[18:19], 1, s[16:17]
	.loc	1 34 20 is_stmt 1               ; attention_fwd.py:34:20
	global_load_ushort v6, v[6:7], off
	s_branch .LBB0_43
.LBB0_42:
	.loc	1 0 20 is_stmt 0                ; attention_fwd.py:0:20
	v_mov_b32_e32 v6, 0
.LBB0_43:
	;; [unrolled: 27-line block ×14, first 2 shown]
	s_load_dword s11, s[62:63], 0x38
	.loc	1 34 51 is_stmt 1               ; attention_fwd.py:34:51
	s_cmp_lt_i32 s61, s33
	s_cselect_b64 s[40:41], -1, 0
	.loc	1 31 32                         ; attention_fwd.py:31:32
	s_and_b64 s[8:9], s[8:9], s[40:41]
	.loc	1 34 20                         ; attention_fwd.py:34:20
	v_cndmask_b32_e64 v20, 0, 1, s[8:9]
	v_cmp_ne_u32_e64 s[40:41], 1, v20
	s_andn2_b64 vcc, exec, s[8:9]
	s_cbranch_vccnz .LBB0_97
; %bb.80:
	.loc	1 33 39                         ; attention_fwd.py:33:39
	s_mul_i32 s8, s61, s13
	.loc	1 33 21 is_stmt 0               ; attention_fwd.py:33:21
	s_ashr_i32 s9, s8, 31
	s_lshl_b64 s[8:9], s[8:9], 1
	s_add_u32 s8, s4, s8
	s_addc_u32 s9, s5, s9
	.loc	1 33 51                         ; attention_fwd.py:33:51
	v_lshl_add_u64 v[20:21], v[18:19], 1, s[8:9]
	.loc	1 34 20 is_stmt 1               ; attention_fwd.py:34:20
	global_load_ushort v23, v[20:21], off
	.loc	1 44 69                         ; attention_fwd.py:44:69
	s_waitcnt lgkmcnt(0)
	v_mul_lo_u32 v20, s11, v4
	.loc	1 45 20                         ; attention_fwd.py:45:20
	s_and_b64 vcc, exec, s[2:3]
	.loc	1 44 51                         ; attention_fwd.py:44:51
	v_ashrrev_i32_e32 v21, 31, v20
	.loc	1 45 20                         ; attention_fwd.py:45:20
	s_cbranch_vccz .LBB0_98
.LBB0_81:
	.loc	1 0 20 is_stmt 0                ; attention_fwd.py:0:20
	v_mov_b32_e32 v4, 0
	.loc	1 45 20                         ; attention_fwd.py:45:20
	s_and_b64 vcc, exec, s[42:43]
	s_cbranch_vccz .LBB0_99
.LBB0_82:
	.loc	1 0 20                          ; attention_fwd.py:0:20
	v_mov_b32_e32 v24, 0
	.loc	1 45 20                         ; attention_fwd.py:45:20
	s_and_b64 vcc, exec, s[46:47]
	s_cbranch_vccz .LBB0_100
.LBB0_83:
	.loc	1 0 20                          ; attention_fwd.py:0:20
	v_mov_b32_e32 v25, 0
	.loc	1 45 20                         ; attention_fwd.py:45:20
	s_and_b64 vcc, exec, s[44:45]
	s_cbranch_vccz .LBB0_101
.LBB0_84:
	.loc	1 0 20                          ; attention_fwd.py:0:20
	v_mov_b32_e32 v26, 0
	.loc	1 45 20                         ; attention_fwd.py:45:20
	s_and_b64 vcc, exec, s[16:17]
	s_cbranch_vccz .LBB0_102
.LBB0_85:
	.loc	1 0 20                          ; attention_fwd.py:0:20
	v_mov_b32_e32 v27, 0
	.loc	1 45 20                         ; attention_fwd.py:45:20
	s_and_b64 vcc, exec, s[18:19]
	s_cbranch_vccz .LBB0_103
.LBB0_86:
	.loc	1 0 20                          ; attention_fwd.py:0:20
	v_mov_b32_e32 v28, 0
	.loc	1 45 20                         ; attention_fwd.py:45:20
	s_and_b64 vcc, exec, s[20:21]
	s_cbranch_vccz .LBB0_104
.LBB0_87:
	.loc	1 0 20                          ; attention_fwd.py:0:20
	v_mov_b32_e32 v29, 0
	.loc	1 45 20                         ; attention_fwd.py:45:20
	s_and_b64 vcc, exec, s[22:23]
	s_cbranch_vccz .LBB0_105
.LBB0_88:
	.loc	1 0 20                          ; attention_fwd.py:0:20
	v_mov_b32_e32 v30, 0
	.loc	1 45 20                         ; attention_fwd.py:45:20
	s_and_b64 vcc, exec, s[24:25]
	s_cbranch_vccz .LBB0_106
.LBB0_89:
	.loc	1 0 20                          ; attention_fwd.py:0:20
	v_mov_b32_e32 v31, 0
	.loc	1 45 20                         ; attention_fwd.py:45:20
	s_and_b64 vcc, exec, s[26:27]
	s_cbranch_vccz .LBB0_107
.LBB0_90:
	.loc	1 0 20                          ; attention_fwd.py:0:20
	v_mov_b32_e32 v32, 0
	.loc	1 45 20                         ; attention_fwd.py:45:20
	s_and_b64 vcc, exec, s[28:29]
	s_cbranch_vccz .LBB0_108
.LBB0_91:
	.loc	1 0 20                          ; attention_fwd.py:0:20
	v_mov_b32_e32 v33, 0
	.loc	1 45 20                         ; attention_fwd.py:45:20
	s_and_b64 vcc, exec, s[30:31]
	s_cbranch_vccz .LBB0_109
.LBB0_92:
	.loc	1 0 20                          ; attention_fwd.py:0:20
	v_mov_b32_e32 v34, 0
	.loc	1 45 20                         ; attention_fwd.py:45:20
	s_and_b64 vcc, exec, s[34:35]
	s_cbranch_vccz .LBB0_110
.LBB0_93:
	.loc	1 0 20                          ; attention_fwd.py:0:20
	v_mov_b32_e32 v35, 0
	.loc	1 45 20                         ; attention_fwd.py:45:20
	s_and_b64 vcc, exec, s[36:37]
	s_cbranch_vccz .LBB0_111
.LBB0_94:
	.loc	1 0 20                          ; attention_fwd.py:0:20
	v_mov_b32_e32 v36, 0
	.loc	1 45 20                         ; attention_fwd.py:45:20
	s_and_b64 vcc, exec, s[38:39]
	s_cbranch_vccz .LBB0_112
.LBB0_95:
	.loc	1 0 20                          ; attention_fwd.py:0:20
	v_mov_b32_e32 v37, 0
	.loc	1 45 20                         ; attention_fwd.py:45:20
	s_and_b64 vcc, exec, s[40:41]
	v_and_b32_e32 v2, 0xfe, v2
	s_cbranch_vccz .LBB0_113
.LBB0_96:
	.loc	1 0 20                          ; attention_fwd.py:0:20
	v_mov_b32_e32 v38, 0
	.loc	1 45 20                         ; attention_fwd.py:45:20
	s_branch .LBB0_114
.LBB0_97:
	.loc	1 0 20                          ; attention_fwd.py:0:20
	v_mov_b32_e32 v23, 0
	.loc	1 44 69 is_stmt 1               ; attention_fwd.py:44:69
	s_waitcnt lgkmcnt(0)
	v_mul_lo_u32 v20, s11, v4
	.loc	1 45 20                         ; attention_fwd.py:45:20
	s_and_b64 vcc, exec, s[2:3]
	.loc	1 44 51                         ; attention_fwd.py:44:51
	v_ashrrev_i32_e32 v21, 31, v20
	.loc	1 45 20                         ; attention_fwd.py:45:20
	s_cbranch_vccnz .LBB0_81
.LBB0_98:
	.loc	1 0 20 is_stmt 0                ; attention_fwd.py:0:20
	s_mul_i32 s2, s64, s15
	s_ashr_i32 s3, s2, 31
	s_lshl_b64 s[2:3], s[2:3], 1
	s_add_u32 s2, s6, s2
	s_addc_u32 s3, s7, s3
	v_lshl_add_u64 v[24:25], v[20:21], 1, s[2:3]
	.loc	1 45 20                         ; attention_fwd.py:45:20
	global_load_ushort v4, v[24:25], off
	s_and_b64 vcc, exec, s[42:43]
	s_cbranch_vccnz .LBB0_82
.LBB0_99:
	.loc	1 44 39 is_stmt 1               ; attention_fwd.py:44:39
	s_mul_i32 s2, s12, s15
	.loc	1 44 21 is_stmt 0               ; attention_fwd.py:44:21
	s_ashr_i32 s3, s2, 31
	s_lshl_b64 s[2:3], s[2:3], 1
	s_add_u32 s2, s6, s2
	s_addc_u32 s3, s7, s3
	.loc	1 44 51                         ; attention_fwd.py:44:51
	v_lshl_add_u64 v[24:25], v[20:21], 1, s[2:3]
	.loc	1 45 20 is_stmt 1               ; attention_fwd.py:45:20
	global_load_ushort v24, v[24:25], off
	s_and_b64 vcc, exec, s[46:47]
	s_cbranch_vccnz .LBB0_83
.LBB0_100:
	.loc	1 44 39                         ; attention_fwd.py:44:39
	s_mul_i32 s2, s48, s15
	.loc	1 44 21 is_stmt 0               ; attention_fwd.py:44:21
	s_ashr_i32 s3, s2, 31
	s_lshl_b64 s[2:3], s[2:3], 1
	s_add_u32 s2, s6, s2
	s_addc_u32 s3, s7, s3
	.loc	1 44 51                         ; attention_fwd.py:44:51
	v_lshl_add_u64 v[26:27], v[20:21], 1, s[2:3]
	.loc	1 45 20 is_stmt 1               ; attention_fwd.py:45:20
	global_load_ushort v25, v[26:27], off
	s_and_b64 vcc, exec, s[44:45]
	s_cbranch_vccnz .LBB0_84
.LBB0_101:
	.loc	1 44 39                         ; attention_fwd.py:44:39
	s_mul_i32 s2, s49, s15
	.loc	1 44 21 is_stmt 0               ; attention_fwd.py:44:21
	s_ashr_i32 s3, s2, 31
	s_lshl_b64 s[2:3], s[2:3], 1
	s_add_u32 s2, s6, s2
	s_addc_u32 s3, s7, s3
	.loc	1 44 51                         ; attention_fwd.py:44:51
	v_lshl_add_u64 v[26:27], v[20:21], 1, s[2:3]
	.loc	1 45 20 is_stmt 1               ; attention_fwd.py:45:20
	global_load_ushort v26, v[26:27], off
	s_and_b64 vcc, exec, s[16:17]
	s_cbranch_vccnz .LBB0_85
.LBB0_102:
	.loc	1 44 39                         ; attention_fwd.py:44:39
	s_mul_i32 s2, s50, s15
	.loc	1 44 21 is_stmt 0               ; attention_fwd.py:44:21
	s_ashr_i32 s3, s2, 31
	s_lshl_b64 s[2:3], s[2:3], 1
	s_add_u32 s2, s6, s2
	s_addc_u32 s3, s7, s3
	.loc	1 44 51                         ; attention_fwd.py:44:51
	v_lshl_add_u64 v[28:29], v[20:21], 1, s[2:3]
	.loc	1 45 20 is_stmt 1               ; attention_fwd.py:45:20
	global_load_ushort v27, v[28:29], off
	s_and_b64 vcc, exec, s[18:19]
	s_cbranch_vccnz .LBB0_86
.LBB0_103:
	.loc	1 44 39                         ; attention_fwd.py:44:39
	s_mul_i32 s2, s51, s15
	.loc	1 44 21 is_stmt 0               ; attention_fwd.py:44:21
	s_ashr_i32 s3, s2, 31
	s_lshl_b64 s[2:3], s[2:3], 1
	s_add_u32 s2, s6, s2
	s_addc_u32 s3, s7, s3
	.loc	1 44 51                         ; attention_fwd.py:44:51
	v_lshl_add_u64 v[28:29], v[20:21], 1, s[2:3]
	.loc	1 45 20 is_stmt 1               ; attention_fwd.py:45:20
	global_load_ushort v28, v[28:29], off
	s_and_b64 vcc, exec, s[20:21]
	s_cbranch_vccnz .LBB0_87
.LBB0_104:
	.loc	1 44 39                         ; attention_fwd.py:44:39
	s_mul_i32 s2, s52, s15
	.loc	1 44 21 is_stmt 0               ; attention_fwd.py:44:21
	s_ashr_i32 s3, s2, 31
	s_lshl_b64 s[2:3], s[2:3], 1
	s_add_u32 s2, s6, s2
	s_addc_u32 s3, s7, s3
	.loc	1 44 51                         ; attention_fwd.py:44:51
	v_lshl_add_u64 v[30:31], v[20:21], 1, s[2:3]
	.loc	1 45 20 is_stmt 1               ; attention_fwd.py:45:20
	global_load_ushort v29, v[30:31], off
	s_and_b64 vcc, exec, s[22:23]
	s_cbranch_vccnz .LBB0_88
.LBB0_105:
	.loc	1 44 39                         ; attention_fwd.py:44:39
	s_mul_i32 s2, s53, s15
	.loc	1 44 21 is_stmt 0               ; attention_fwd.py:44:21
	s_ashr_i32 s3, s2, 31
	s_lshl_b64 s[2:3], s[2:3], 1
	s_add_u32 s2, s6, s2
	s_addc_u32 s3, s7, s3
	.loc	1 44 51                         ; attention_fwd.py:44:51
	v_lshl_add_u64 v[30:31], v[20:21], 1, s[2:3]
	.loc	1 45 20 is_stmt 1               ; attention_fwd.py:45:20
	global_load_ushort v30, v[30:31], off
	s_and_b64 vcc, exec, s[24:25]
	s_cbranch_vccnz .LBB0_89
.LBB0_106:
	.loc	1 44 39                         ; attention_fwd.py:44:39
	s_mul_i32 s2, s54, s15
	.loc	1 44 21 is_stmt 0               ; attention_fwd.py:44:21
	s_ashr_i32 s3, s2, 31
	s_lshl_b64 s[2:3], s[2:3], 1
	s_add_u32 s2, s6, s2
	s_addc_u32 s3, s7, s3
	.loc	1 44 51                         ; attention_fwd.py:44:51
	v_lshl_add_u64 v[32:33], v[20:21], 1, s[2:3]
	.loc	1 45 20 is_stmt 1               ; attention_fwd.py:45:20
	global_load_ushort v31, v[32:33], off
	s_and_b64 vcc, exec, s[26:27]
	s_cbranch_vccnz .LBB0_90
.LBB0_107:
	.loc	1 44 39                         ; attention_fwd.py:44:39
	s_mul_i32 s2, s55, s15
	.loc	1 44 21 is_stmt 0               ; attention_fwd.py:44:21
	s_ashr_i32 s3, s2, 31
	s_lshl_b64 s[2:3], s[2:3], 1
	s_add_u32 s2, s6, s2
	s_addc_u32 s3, s7, s3
	.loc	1 44 51                         ; attention_fwd.py:44:51
	v_lshl_add_u64 v[32:33], v[20:21], 1, s[2:3]
	.loc	1 45 20 is_stmt 1               ; attention_fwd.py:45:20
	global_load_ushort v32, v[32:33], off
	s_and_b64 vcc, exec, s[28:29]
	s_cbranch_vccnz .LBB0_91
.LBB0_108:
	.loc	1 44 39                         ; attention_fwd.py:44:39
	s_mul_i32 s2, s56, s15
	.loc	1 44 21 is_stmt 0               ; attention_fwd.py:44:21
	s_ashr_i32 s3, s2, 31
	s_lshl_b64 s[2:3], s[2:3], 1
	s_add_u32 s2, s6, s2
	s_addc_u32 s3, s7, s3
	.loc	1 44 51                         ; attention_fwd.py:44:51
	v_lshl_add_u64 v[34:35], v[20:21], 1, s[2:3]
	.loc	1 45 20 is_stmt 1               ; attention_fwd.py:45:20
	global_load_ushort v33, v[34:35], off
	s_and_b64 vcc, exec, s[30:31]
	s_cbranch_vccnz .LBB0_92
.LBB0_109:
	.loc	1 44 39                         ; attention_fwd.py:44:39
	s_mul_i32 s2, s57, s15
	.loc	1 44 21 is_stmt 0               ; attention_fwd.py:44:21
	s_ashr_i32 s3, s2, 31
	s_lshl_b64 s[2:3], s[2:3], 1
	s_add_u32 s2, s6, s2
	s_addc_u32 s3, s7, s3
	.loc	1 44 51                         ; attention_fwd.py:44:51
	v_lshl_add_u64 v[34:35], v[20:21], 1, s[2:3]
	.loc	1 45 20 is_stmt 1               ; attention_fwd.py:45:20
	global_load_ushort v34, v[34:35], off
	s_and_b64 vcc, exec, s[34:35]
	s_cbranch_vccnz .LBB0_93
.LBB0_110:
	.loc	1 44 39                         ; attention_fwd.py:44:39
	s_mul_i32 s2, s58, s15
	.loc	1 44 21 is_stmt 0               ; attention_fwd.py:44:21
	s_ashr_i32 s3, s2, 31
	s_lshl_b64 s[2:3], s[2:3], 1
	s_add_u32 s2, s6, s2
	s_addc_u32 s3, s7, s3
	.loc	1 44 51                         ; attention_fwd.py:44:51
	v_lshl_add_u64 v[36:37], v[20:21], 1, s[2:3]
	.loc	1 45 20 is_stmt 1               ; attention_fwd.py:45:20
	global_load_ushort v35, v[36:37], off
	s_and_b64 vcc, exec, s[36:37]
	s_cbranch_vccnz .LBB0_94
.LBB0_111:
	.loc	1 44 39                         ; attention_fwd.py:44:39
	s_mul_i32 s2, s59, s15
	.loc	1 44 21 is_stmt 0               ; attention_fwd.py:44:21
	s_ashr_i32 s3, s2, 31
	s_lshl_b64 s[2:3], s[2:3], 1
	s_add_u32 s2, s6, s2
	s_addc_u32 s3, s7, s3
	.loc	1 44 51                         ; attention_fwd.py:44:51
	v_lshl_add_u64 v[36:37], v[20:21], 1, s[2:3]
	.loc	1 45 20 is_stmt 1               ; attention_fwd.py:45:20
	global_load_ushort v36, v[36:37], off
	s_and_b64 vcc, exec, s[38:39]
	s_cbranch_vccnz .LBB0_95
.LBB0_112:
	.loc	1 44 39                         ; attention_fwd.py:44:39
	s_mul_i32 s2, s60, s15
	.loc	1 44 21 is_stmt 0               ; attention_fwd.py:44:21
	s_ashr_i32 s3, s2, 31
	s_lshl_b64 s[2:3], s[2:3], 1
	s_add_u32 s2, s6, s2
	s_addc_u32 s3, s7, s3
	.loc	1 44 51                         ; attention_fwd.py:44:51
	v_lshl_add_u64 v[38:39], v[20:21], 1, s[2:3]
	.loc	1 45 20 is_stmt 1               ; attention_fwd.py:45:20
	global_load_ushort v37, v[38:39], off
	s_and_b64 vcc, exec, s[40:41]
	v_and_b32_e32 v2, 0xfe, v2
	s_cbranch_vccnz .LBB0_96
.LBB0_113:
	.loc	1 44 39                         ; attention_fwd.py:44:39
	s_mul_i32 s2, s61, s15
	.loc	1 44 21 is_stmt 0               ; attention_fwd.py:44:21
	s_ashr_i32 s3, s2, 31
	s_lshl_b64 s[2:3], s[2:3], 1
	s_add_u32 s2, s6, s2
	s_addc_u32 s3, s7, s3
	.loc	1 44 51                         ; attention_fwd.py:44:51
	v_lshl_add_u64 v[38:39], v[20:21], 1, s[2:3]
	.loc	1 45 20 is_stmt 1               ; attention_fwd.py:45:20
	global_load_ushort v38, v[38:39], off
.LBB0_114:
	.loc	1 17 46                         ; attention_fwd.py:17:46
	s_lshr_b32 s2, s91, 1
	.loc	1 45 20                         ; attention_fwd.py:45:20
	s_and_b64 s[0:1], s[0:1], exec
	s_cselect_b32 s0, 0, 0x108
	v_xor_b32_e32 v2, s0, v2
	.loc	1 34 20                         ; attention_fwd.py:34:20
	s_waitcnt lgkmcnt(0)
	s_barrier
	s_waitcnt vmcnt(0)
	ds_write_b16 v60, v3
	ds_write_b16 v60, v8 offset:2048
	ds_write_b16 v60, v12 offset:4096
	;; [unrolled: 1-line block ×15, first 2 shown]
	v_xor_b32_e32 v3, 16, v2
	.loc	1 17 46                         ; attention_fwd.py:17:46
	v_lshrrev_b32_e32 v65, 3, v1
	v_or_b32_e32 v39, s99, v54
	.loc	1 45 20                         ; attention_fwd.py:45:20
	v_add_u32_e32 v97, 0, v2
	v_add_u32_e32 v98, 0, v3
	v_xor_b32_e32 v3, 32, v2
	v_xor_b32_e32 v2, 48, v2
	.loc	1 17 46                         ; attention_fwd.py:17:46
	v_cmp_eq_u32_e64 s[92:93], 0, v1
	v_or_b32_e32 v66, 1, v65
	v_or_b32_e32 v67, 2, v65
	;; [unrolled: 1-line block ×31, first 2 shown]
	.loc	1 17 33 is_stmt 0               ; attention_fwd.py:17:33
	v_or_b32_e32 v64, s2, v39
	.loc	1 45 20 is_stmt 1               ; attention_fwd.py:45:20
	ds_write_b16 v97, v4 offset:8192
	ds_write_b16 v97, v27 offset:10240
	;; [unrolled: 1-line block ×4, first 2 shown]
	v_add_u32_e32 v99, 0, v3
	v_add_u32_e32 v100, 0, v2
	v_mov_b32_e32 v3, 0
	.loc	1 31 32                         ; attention_fwd.py:31:32
	s_cmp_lt_i32 s99, 1
	v_mov_b32_e32 v120, 0
	v_mov_b32_e32 v105, 0xff800000
	v_mov_b32_e32 v2, 0
	v_mov_b32_e32 v5, 0
	v_mov_b32_e32 v4, 0
	v_mov_b32_e32 v7, 0
	v_mov_b32_e32 v6, 0
	v_mov_b32_e32 v9, 0
	v_mov_b32_e32 v8, 0
	v_mov_b32_e32 v11, 0
	v_mov_b32_e32 v10, 0
	v_mov_b32_e32 v13, 0
	v_mov_b32_e32 v12, 0
	v_mov_b32_e32 v15, 0
	v_mov_b32_e32 v14, 0
	v_mov_b32_e32 v17, 0
	v_mov_b32_e32 v16, 0
	v_writelane_b32 v197, s2, 2
	.loc	1 45 20                         ; attention_fwd.py:45:20
	ds_write_b16 v98, v24 offset:8704
	ds_write_b16 v98, v28 offset:10752
	;; [unrolled: 1-line block ×12, first 2 shown]
	.loc	1 31 32                         ; attention_fwd.py:31:32
	s_cbranch_scc1 .LBB0_306
; %bb.115:                              ; %.lr.ph
	.loc	1 32 27                         ; attention_fwd.py:32:27
	s_or_b32 s0, s64, 64
	.loc	1 34 51                         ; attention_fwd.py:34:51
	s_cmp_lt_i32 s0, s33
	s_cselect_b64 s[2:3], -1, 0
	v_writelane_b32 v197, s2, 3
	s_cmp_ge_i32 s0, s33
	.loc	1 31 32                         ; attention_fwd.py:31:32
	v_lshl_add_u64 v[50:51], v[18:19], 1, s[4:5]
	.loc	1 34 51                         ; attention_fwd.py:34:51
	v_writelane_b32 v197, s3, 4
	.loc	1 34 20 is_stmt 0               ; attention_fwd.py:34:20
	v_writelane_b32 v197, s0, 5
	s_cbranch_scc1 .LBB0_117
; %bb.116:
	.loc	1 0 20                          ; attention_fwd.py:0:20
	s_mul_i32 s0, s0, s13
	s_ashr_i32 s1, s0, 31
	v_lshl_add_u64 v[2:3], s[0:1], 1, v[50:51]
	.loc	1 34 20                         ; attention_fwd.py:34:20
	global_load_ushort v39, v[2:3], off
	s_branch .LBB0_118
.LBB0_117:
	.loc	1 0 20                          ; attention_fwd.py:0:20
	v_mov_b32_e32 v39, 0
.LBB0_118:
	.loc	1 32 27 is_stmt 1               ; attention_fwd.py:32:27
	s_or_b32 s12, s64, 0x44
	.loc	1 34 51                         ; attention_fwd.py:34:51
	s_cmp_lt_i32 s12, s33
	s_cselect_b64 s[0:1], -1, 0
	v_writelane_b32 v197, s0, 6
	s_cmp_ge_i32 s12, s33
	s_nop 0
	v_writelane_b32 v197, s1, 7
	.loc	1 34 20 is_stmt 0               ; attention_fwd.py:34:20
	s_cbranch_scc1 .LBB0_120
; %bb.119:
	.loc	1 33 39 is_stmt 1               ; attention_fwd.py:33:39
	s_mul_i32 s0, s12, s13
	.loc	1 33 21 is_stmt 0               ; attention_fwd.py:33:21
	s_ashr_i32 s1, s0, 31
	.loc	1 33 51                         ; attention_fwd.py:33:51
	v_lshl_add_u64 v[2:3], s[0:1], 1, v[50:51]
	.loc	1 34 20 is_stmt 1               ; attention_fwd.py:34:20
	global_load_ushort v40, v[2:3], off
	s_branch .LBB0_121
.LBB0_120:
	.loc	1 0 20 is_stmt 0                ; attention_fwd.py:0:20
	v_mov_b32_e32 v40, 0
.LBB0_121:
	.loc	1 32 27 is_stmt 1               ; attention_fwd.py:32:27
	s_or_b32 s14, s64, 0x48
	.loc	1 34 51                         ; attention_fwd.py:34:51
	s_cmp_lt_i32 s14, s33
	s_cselect_b64 s[0:1], -1, 0
	v_writelane_b32 v197, s0, 8
	s_cmp_ge_i32 s14, s33
	s_nop 0
	v_writelane_b32 v197, s1, 9
	v_writelane_b32 v197, s90, 10
	v_writelane_b32 v197, s91, 11
	v_writelane_b32 v197, s62, 12
	s_nop 1
	v_writelane_b32 v197, s63, 13
	v_writelane_b32 v197, s92, 14
	s_nop 1
	v_writelane_b32 v197, s93, 15
	.loc	1 34 20 is_stmt 0               ; attention_fwd.py:34:20
	s_cbranch_scc1 .LBB0_123
; %bb.122:
	.loc	1 33 39 is_stmt 1               ; attention_fwd.py:33:39
	s_mul_i32 s0, s14, s13
	.loc	1 33 21 is_stmt 0               ; attention_fwd.py:33:21
	s_ashr_i32 s1, s0, 31
	.loc	1 33 51                         ; attention_fwd.py:33:51
	v_lshl_add_u64 v[2:3], s[0:1], 1, v[50:51]
	.loc	1 34 20 is_stmt 1               ; attention_fwd.py:34:20
	global_load_ushort v41, v[2:3], off
	s_branch .LBB0_124
.LBB0_123:
	.loc	1 0 20 is_stmt 0                ; attention_fwd.py:0:20
	v_mov_b32_e32 v41, 0
.LBB0_124:
	.loc	1 32 27 is_stmt 1               ; attention_fwd.py:32:27
	s_or_b32 s96, s64, 0x4c
	.loc	1 34 51                         ; attention_fwd.py:34:51
	s_cmp_lt_i32 s96, s33
	s_cselect_b64 s[0:1], -1, 0
	v_writelane_b32 v197, s0, 16
	s_cmp_ge_i32 s96, s33
	s_nop 0
	v_writelane_b32 v197, s1, 17
	.loc	1 34 20 is_stmt 0               ; attention_fwd.py:34:20
	s_cbranch_scc1 .LBB0_126
; %bb.125:
	.loc	1 33 39 is_stmt 1               ; attention_fwd.py:33:39
	s_mul_i32 s0, s96, s13
	.loc	1 33 21 is_stmt 0               ; attention_fwd.py:33:21
	s_ashr_i32 s1, s0, 31
	.loc	1 33 51                         ; attention_fwd.py:33:51
	v_lshl_add_u64 v[2:3], s[0:1], 1, v[50:51]
	.loc	1 34 20 is_stmt 1               ; attention_fwd.py:34:20
	global_load_ushort v42, v[2:3], off
	s_branch .LBB0_127
.LBB0_126:
	.loc	1 0 20 is_stmt 0                ; attention_fwd.py:0:20
	v_mov_b32_e32 v42, 0
.LBB0_127:
	.loc	1 32 27 is_stmt 1               ; attention_fwd.py:32:27
	s_or_b32 s97, s64, 0x50
	.loc	1 34 51                         ; attention_fwd.py:34:51
	s_cmp_lt_i32 s97, s33
	s_cselect_b64 s[0:1], -1, 0
	v_writelane_b32 v197, s0, 18
	s_cmp_ge_i32 s97, s33
	;; [unrolled: 25-line block ×3, first 2 shown]
	s_nop 0
	v_writelane_b32 v197, s1, 21
	.loc	1 34 20 is_stmt 0               ; attention_fwd.py:34:20
	v_writelane_b32 v197, s99, 22
	s_cbranch_scc1 .LBB0_132
; %bb.131:
	.loc	1 33 39 is_stmt 1               ; attention_fwd.py:33:39
	s_mul_i32 s0, s98, s13
	.loc	1 33 21 is_stmt 0               ; attention_fwd.py:33:21
	s_ashr_i32 s1, s0, 31
	.loc	1 33 51                         ; attention_fwd.py:33:51
	v_lshl_add_u64 v[2:3], s[0:1], 1, v[50:51]
	.loc	1 34 20 is_stmt 1               ; attention_fwd.py:34:20
	global_load_ushort v44, v[2:3], off
	s_branch .LBB0_133
.LBB0_132:
	.loc	1 0 20 is_stmt 0                ; attention_fwd.py:0:20
	v_mov_b32_e32 v44, 0
.LBB0_133:
	.loc	1 32 27 is_stmt 1               ; attention_fwd.py:32:27
	s_or_b32 s99, s64, 0x58
	.loc	1 34 51                         ; attention_fwd.py:34:51
	s_cmp_lt_i32 s99, s33
	s_cselect_b64 s[0:1], -1, 0
	v_writelane_b32 v197, s0, 23
	s_cmp_ge_i32 s99, s33
	s_nop 0
	v_writelane_b32 v197, s1, 24
	.loc	1 34 20 is_stmt 0               ; attention_fwd.py:34:20
	s_cbranch_scc1 .LBB0_135
; %bb.134:
	.loc	1 33 39 is_stmt 1               ; attention_fwd.py:33:39
	s_mul_i32 s0, s99, s13
	.loc	1 33 21 is_stmt 0               ; attention_fwd.py:33:21
	s_ashr_i32 s1, s0, 31
	.loc	1 33 51                         ; attention_fwd.py:33:51
	v_lshl_add_u64 v[2:3], s[0:1], 1, v[50:51]
	.loc	1 34 20 is_stmt 1               ; attention_fwd.py:34:20
	global_load_ushort v45, v[2:3], off
	s_branch .LBB0_136
.LBB0_135:
	.loc	1 0 20 is_stmt 0                ; attention_fwd.py:0:20
	v_mov_b32_e32 v45, 0
.LBB0_136:
	.loc	1 32 27 is_stmt 1               ; attention_fwd.py:32:27
	s_or_b32 s0, s64, 0x5c
	.loc	1 34 51                         ; attention_fwd.py:34:51
	s_cmp_lt_i32 s0, s33
	s_cselect_b64 s[2:3], -1, 0
	v_writelane_b32 v197, s2, 25
	s_cmp_ge_i32 s0, s33
	s_nop 0
	v_writelane_b32 v197, s3, 26
	.loc	1 34 20 is_stmt 0               ; attention_fwd.py:34:20
	;; [unrolled: 25-line block ×9, first 2 shown]
	s_cbranch_scc1 .LBB0_159
; %bb.158:
	.loc	1 33 39 is_stmt 1               ; attention_fwd.py:33:39
	s_mul_i32 s4, s95, s13
	.loc	1 33 21 is_stmt 0               ; attention_fwd.py:33:21
	s_ashr_i32 s5, s4, 31
	.loc	1 33 51                         ; attention_fwd.py:33:51
	v_lshl_add_u64 v[2:3], s[4:5], 1, v[50:51]
	.loc	1 34 20 is_stmt 1               ; attention_fwd.py:34:20
	global_load_ushort v119, v[2:3], off
	s_branch .LBB0_160
.LBB0_159:
	.loc	1 0 20 is_stmt 0                ; attention_fwd.py:0:20
	v_mov_b32_e32 v119, 0
.LBB0_160:
	.loc	1 32 27 is_stmt 1               ; attention_fwd.py:32:27
	s_or_b32 s11, s64, 0x7c
	.loc	1 34 51                         ; attention_fwd.py:34:51
	s_cmp_lt_i32 s11, s33
	s_cselect_b64 s[4:5], -1, 0
	v_writelane_b32 v197, s4, 41
	s_cmp_ge_i32 s11, s33
	s_nop 0
	v_writelane_b32 v197, s5, 42
	v_writelane_b32 v197, s64, 43
	.loc	1 34 20 is_stmt 0               ; attention_fwd.py:34:20
	s_cbranch_scc1 .LBB0_162
; %bb.161:
	.loc	1 33 39 is_stmt 1               ; attention_fwd.py:33:39
	s_mul_i32 s4, s11, s13
	.loc	1 33 21 is_stmt 0               ; attention_fwd.py:33:21
	s_ashr_i32 s5, s4, 31
	.loc	1 33 51                         ; attention_fwd.py:33:51
	v_lshl_add_u64 v[2:3], s[4:5], 1, v[50:51]
	.loc	1 34 20 is_stmt 1               ; attention_fwd.py:34:20
	global_load_ushort v121, v[2:3], off
	s_branch .LBB0_163
.LBB0_162:
	.loc	1 0 20 is_stmt 0                ; attention_fwd.py:0:20
	v_mov_b32_e32 v121, 0
.LBB0_163:
	v_bitop3_b32 v2, v57, v59, v58 bitop3:0x36
	.loc	1 35 23 is_stmt 1               ; attention_fwd.py:35:23
	v_add_u32_e32 v101, 0, v2
	s_waitcnt lgkmcnt(0)
	s_barrier
	ds_read_b128 v[6:9], v101
	ds_read_b128 v[106:109], v101 offset:4096
	.loc	1 31 32                         ; attention_fwd.py:31:32
	v_lshl_add_u64 v[52:53], v[20:21], 1, s[6:7]
	.loc	1 35 23                         ; attention_fwd.py:35:23
	s_waitcnt lgkmcnt(1)
	v_mfma_f32_32x32x16_f16 v[18:33], v[6:9], v[134:137], 0
	v_xor_b32_e32 v3, 32, v2
	v_add_u32_e32 v102, 0, v3
	ds_read_b128 v[10:13], v102
	ds_read_b128 v[110:113], v102 offset:4096
	v_xor_b32_e32 v4, 64, v2
	v_add_u32_e32 v103, 0, v4
	ds_read_b128 v[14:17], v103
	ds_read_b128 v[122:125], v103 offset:4096
	v_xor_b32_e32 v5, 0x60, v2
	s_waitcnt lgkmcnt(3)
	v_mfma_f32_32x32x16_f16 v[18:33], v[10:13], v[126:129], v[18:33]
	v_add_u32_e32 v104, 0, v5
	ds_read_b128 v[2:5], v104
	ds_read_b128 v[142:145], v104 offset:4096
	.loc	1 36 40                         ; attention_fwd.py:36:40
	v_cmp_le_i32_e64 s[64:65], s33, v65
	v_cmp_le_i32_e64 s[52:53], s33, v73
	.loc	1 38 45                         ; attention_fwd.py:38:45
	v_cmp_lt_i32_e64 s[76:77], v64, v65
	v_cmp_lt_i32_e64 s[92:93], v64, v73
	.loc	1 36 40                         ; attention_fwd.py:36:40
	v_cmp_le_i32_e64 s[66:67], s33, v66
	.loc	1 35 23                         ; attention_fwd.py:35:23
	s_waitcnt lgkmcnt(3)
	v_mfma_f32_32x32x16_f16 v[18:33], v[14:17], v[138:141], v[18:33]
	.loc	1 38 45                         ; attention_fwd.py:38:45
	v_cmp_le_i32_e64 s[78:79], v64, v65
	.loc	1 38 66 is_stmt 0               ; attention_fwd.py:38:66
	v_mov_b32_e32 v35, 0xff800000
	s_or_b64 s[64:65], s[76:77], s[64:65]
	s_or_b64 s[52:53], s[92:93], s[52:53]
	.loc	1 36 40 is_stmt 1               ; attention_fwd.py:36:40
	v_cmp_le_i32_e64 s[50:51], s33, v74
	v_cmp_le_i32_e64 s[16:17], s33, v90
	.loc	1 38 66                         ; attention_fwd.py:38:66
	s_or_b64 s[66:67], s[78:79], s[66:67]
	.loc	1 35 23                         ; attention_fwd.py:35:23
	s_waitcnt lgkmcnt(1)
	v_mfma_f32_32x32x16_f16 v[18:33], v[2:5], v[130:133], v[18:33]
	v_readlane_b32 s4, v197, 11
	.loc	1 36 40                         ; attention_fwd.py:36:40
	v_cmp_le_i32_e64 s[68:69], s33, v67
	v_cmp_le_i32_e64 s[70:71], s33, v68
	;; [unrolled: 1-line block ×6, first 2 shown]
	.loc	1 35 23                         ; attention_fwd.py:35:23
	v_mfma_f32_32x32x16_f16 v[2:17], v[106:109], v[134:137], 0
	.loc	1 35 38 is_stmt 0               ; attention_fwd.py:35:38
	s_nop 3
	v_mul_f32_e32 v18, s10, v18
	v_mul_f32_e32 v26, s10, v26
	;; [unrolled: 1-line block ×3, first 2 shown]
	.loc	1 38 66 is_stmt 1               ; attention_fwd.py:38:66
	v_cndmask_b32_e64 v18, v18, v35, s[64:65]
	.loc	1 38 45 is_stmt 0               ; attention_fwd.py:38:45
	v_cmp_lt_i32_e64 s[64:65], v64, v74
	.loc	1 38 66                         ; attention_fwd.py:38:66
	v_cndmask_b32_e64 v26, v26, v35, s[52:53]
	.loc	1 38 45                         ; attention_fwd.py:38:45
	v_cmp_lt_i32_e64 s[52:53], v64, v90
	.loc	1 35 23 is_stmt 1               ; attention_fwd.py:35:23
	v_mfma_f32_32x32x16_f16 v[2:17], v[110:113], v[126:129], v[2:17]
	.loc	1 35 38 is_stmt 0               ; attention_fwd.py:35:38
	v_mul_f32_e32 v27, s10, v27
	.loc	1 36 40 is_stmt 1               ; attention_fwd.py:36:40
	v_cmp_le_i32_e64 s[48:49], s33, v75
	v_cmp_le_i32_e64 s[46:47], s33, v76
	v_cmp_le_i32_e64 s[60:61], s33, v91
	.loc	1 38 45                         ; attention_fwd.py:38:45
	v_cmp_lt_i32_e64 s[80:81], v64, v67
	v_cmp_lt_i32_e64 s[82:83], v64, v68
	;; [unrolled: 1-line block ×3, first 2 shown]
	.loc	1 35 23                         ; attention_fwd.py:35:23
	v_mfma_f32_32x32x16_f16 v[2:17], v[122:125], v[138:141], v[2:17]
	.loc	1 38 45                         ; attention_fwd.py:38:45
	v_cmp_lt_i32_e64 s[86:87], v64, v70
	v_cmp_lt_i32_e64 s[88:89], v64, v71
	;; [unrolled: 1-line block ×4, first 2 shown]
	.loc	1 38 66 is_stmt 0               ; attention_fwd.py:38:66
	v_cndmask_b32_e64 v19, v19, v35, s[66:67]
	.loc	1 38 45                         ; attention_fwd.py:38:45
	v_cmp_lt_i32_e64 s[66:67], v64, v76
	v_cmp_lt_i32_e64 s[92:93], v64, v91
	.loc	1 35 23 is_stmt 1               ; attention_fwd.py:35:23
	s_waitcnt lgkmcnt(0)
	v_mfma_f32_32x32x16_f16 v[2:17], v[142:145], v[130:133], v[2:17]
	.loc	1 38 66                         ; attention_fwd.py:38:66
	s_or_b64 s[50:51], s[64:65], s[50:51]
	s_or_b64 s[16:17], s[52:53], s[16:17]
	s_lshl_b32 s4, s4, 1
	.loc	1 35 38                         ; attention_fwd.py:35:38
	v_mul_f32_e32 v20, s10, v20
	v_mul_f32_e32 v21, s10, v21
	;; [unrolled: 1-line block ×4, first 2 shown]
	s_nop 4
	v_mul_f32_e32 v11, s10, v11
	v_mul_f32_e32 v24, s10, v24
	;; [unrolled: 1-line block ×6, first 2 shown]
	.loc	1 36 40                         ; attention_fwd.py:36:40
	v_cmp_le_i32_e64 s[62:63], s33, v92
	.loc	1 38 66                         ; attention_fwd.py:38:66
	s_or_b64 s[68:69], s[80:81], s[68:69]
	s_or_b64 s[70:71], s[82:83], s[70:71]
	;; [unrolled: 1-line block ×6, first 2 shown]
	v_cndmask_b32_e64 v27, v27, v35, s[50:51]
	.loc	1 38 45 is_stmt 0               ; attention_fwd.py:38:45
	v_cmp_lt_i32_e64 s[50:51], v64, v92
	.loc	1 38 66                         ; attention_fwd.py:38:66
	s_or_b64 s[48:49], s[76:77], s[48:49]
	s_or_b64 s[46:47], s[66:67], s[46:47]
	v_cndmask_b32_e64 v11, v11, v35, s[16:17]
	s_or_b64 s[16:17], s[92:93], s[60:61]
	v_writelane_b32 v197, s4, 44
	.loc	1 35 38 is_stmt 1               ; attention_fwd.py:35:38
	v_mul_f32_e32 v13, s10, v13
	.loc	1 36 40                         ; attention_fwd.py:36:40
	v_cmp_le_i32_e64 s[44:45], s33, v77
	v_cmp_le_i32_e64 s[42:43], s33, v78
	;; [unrolled: 1-line block ×16, first 2 shown]
	v_cmp_le_i32_e32 vcc, s33, v96
	.loc	1 38 45                         ; attention_fwd.py:38:45
	v_cmp_lt_i32_e64 s[78:79], v64, v77
	.loc	1 38 66 is_stmt 0               ; attention_fwd.py:38:66
	v_cndmask_b32_e64 v20, v20, v35, s[68:69]
	.loc	1 38 45                         ; attention_fwd.py:38:45
	v_cmp_lt_i32_e64 s[68:69], v64, v78
	v_cmp_lt_i32_e64 s[80:81], v64, v79
	.loc	1 38 66                         ; attention_fwd.py:38:66
	v_cndmask_b32_e64 v21, v21, v35, s[70:71]
	.loc	1 38 45                         ; attention_fwd.py:38:45
	v_cmp_lt_i32_e64 s[70:71], v64, v80
	v_cmp_lt_i32_e64 s[82:83], v64, v81
	.loc	1 38 66                         ; attention_fwd.py:38:66
	;; [unrolled: 5-line block ×5, first 2 shown]
	v_cndmask_b32_e64 v25, v25, v35, s[54:55]
	.loc	1 38 45                         ; attention_fwd.py:38:45
	v_cmp_lt_i32_e64 s[54:55], v64, v88
	v_cmp_lt_i32_e64 s[90:91], v64, v89
	v_cmp_lt_i32_e64 s[64:65], v64, v93
	.loc	1 38 66                         ; attention_fwd.py:38:66
	v_cndmask_b32_e64 v28, v28, v35, s[48:49]
	.loc	1 38 45                         ; attention_fwd.py:38:45
	v_cmp_lt_i32_e64 s[48:49], v64, v94
	v_cmp_lt_i32_e64 s[76:77], v64, v95
	.loc	1 38 66                         ; attention_fwd.py:38:66
	v_cndmask_b32_e64 v29, v29, v35, s[46:47]
	.loc	1 38 45                         ; attention_fwd.py:38:45
	v_cmp_lt_i32_e64 s[46:47], v64, v96
	.loc	1 38 66                         ; attention_fwd.py:38:66
	v_cndmask_b32_e64 v12, v12, v35, s[16:17]
	s_or_b64 s[16:17], s[50:51], s[62:63]
	.loc	1 35 38 is_stmt 1               ; attention_fwd.py:35:38
	v_mul_f32_e32 v30, s10, v30
	v_mul_f32_e32 v31, s10, v31
	;; [unrolled: 1-line block ×17, first 2 shown]
	.loc	1 38 66                         ; attention_fwd.py:38:66
	s_or_b64 s[44:45], s[78:79], s[44:45]
	s_or_b64 s[42:43], s[68:69], s[42:43]
	;; [unrolled: 1-line block ×13, first 2 shown]
	v_cndmask_b32_e64 v13, v13, v35, s[16:17]
	s_or_b64 s[16:17], s[64:65], s[58:59]
	s_or_b64 s[6:7], s[48:49], s[6:7]
	;; [unrolled: 1-line block ×3, first 2 shown]
	s_or_b64 vcc, s[46:47], vcc
	v_cndmask_b32_e64 v30, v30, v35, s[44:45]
	v_cndmask_b32_e64 v31, v31, v35, s[42:43]
	;; [unrolled: 1-line block ×16, first 2 shown]
	v_cndmask_b32_e32 v17, v17, v35, vcc
.Ltmp2:
	.file	2 "/root/.local/lib/python3.13/site-packages/triton/language" "standard.py"
	.loc	2 170 27                        ; standard.py:170:27 @[ standard.py:191:40 @[ attention_fwd.py:39:42 ] ]
	v_max_f32_e32 v35, v18, v19
	v_max3_f32 v35, v35, v20, v21
	v_max3_f32 v35, v35, v22, v23
	;; [unrolled: 1-line block ×15, first 2 shown]
.Ltmp3:
	.loc	2 191 40                        ; standard.py:191:40 @[ attention_fwd.py:39:42 ]
	v_mov_b32_e32 v36, v35
	s_mov_b32 s66, 0xff800000
	s_nop 0
	v_permlane32_swap_b32_e32 v35, v36
.Ltmp4:
	.loc	1 39 31                         ; attention_fwd.py:39:31
	v_max3_f32 v105, v35, v36, s66
	.loc	1 40 24                         ; attention_fwd.py:40:24
	v_sub_f32_e32 v18, v18, v105
	v_sub_f32_e32 v35, v3, v105
	.loc	1 40 19 is_stmt 0               ; attention_fwd.py:40:19
	v_mul_f32_e32 v3, 0x3fb8aa3b, v18
	s_mov_b32 s6, 0xc2fc0000
	v_mov_b32_e32 v120, 0x42800000
	v_cmp_gt_f32_e32 vcc, s6, v3
	v_not_b32_e32 v123, 63
	.loc	1 40 24                         ; attention_fwd.py:40:24
	v_sub_f32_e32 v19, v19, v105
	.loc	1 40 19                         ; attention_fwd.py:40:19
	v_cndmask_b32_e32 v3, 0, v120, vcc
	v_fmac_f32_e32 v3, 0x3fb8aa3b, v18
	v_exp_f32_e32 v3, v3
	.loc	1 40 24                         ; attention_fwd.py:40:24
	v_sub_f32_e32 v36, v4, v105
	.loc	1 40 19                         ; attention_fwd.py:40:19
	v_cndmask_b32_e32 v4, 0, v123, vcc
	.loc	1 40 24                         ; attention_fwd.py:40:24
	v_sub_f32_e32 v20, v20, v105
	v_sub_f32_e32 v106, v7, v105
	.loc	1 40 19                         ; attention_fwd.py:40:19
	v_ldexp_f32 v7, v3, v4
	v_mul_f32_e32 v3, 0x3fb8aa3b, v19
	v_cmp_gt_f32_e32 vcc, s6, v3
	v_mul_f32_e32 v4, 0x3fb8aa3b, v20
	v_cmp_gt_f32_e64 s[4:5], s6, v4
	v_cndmask_b32_e32 v3, 0, v120, vcc
	v_fmac_f32_e32 v3, 0x3fb8aa3b, v19
	v_cndmask_b32_e64 v4, 0, v120, s[4:5]
	v_exp_f32_e32 v3, v3
	v_fmac_f32_e32 v4, 0x3fb8aa3b, v20
	v_exp_f32_e32 v4, v4
	.loc	1 40 24                         ; attention_fwd.py:40:24
	v_sub_f32_e32 v37, v5, v105
	.loc	1 40 19                         ; attention_fwd.py:40:19
	v_cndmask_b32_e32 v5, 0, v123, vcc
	.loc	1 40 24                         ; attention_fwd.py:40:24
	v_sub_f32_e32 v21, v21, v105
	v_sub_f32_e32 v109, v10, v105
	.loc	1 40 19                         ; attention_fwd.py:40:19
	v_ldexp_f32 v10, v3, v5
	v_cndmask_b32_e64 v3, 0, v123, s[4:5]
	.loc	1 40 24                         ; attention_fwd.py:40:24
	v_sub_f32_e32 v22, v22, v105
	.loc	1 40 19                         ; attention_fwd.py:40:19
	v_ldexp_f32 v5, v4, v3
	v_mul_f32_e32 v3, 0x3fb8aa3b, v21
	v_cmp_gt_f32_e32 vcc, s6, v3
	v_mul_f32_e32 v4, 0x3fb8aa3b, v22
	v_cmp_gt_f32_e64 s[4:5], s6, v4
	v_cndmask_b32_e32 v3, 0, v120, vcc
	v_fmac_f32_e32 v3, 0x3fb8aa3b, v21
	v_cndmask_b32_e64 v4, 0, v120, s[4:5]
	v_exp_f32_e32 v3, v3
	v_fmac_f32_e32 v4, 0x3fb8aa3b, v22
	v_exp_f32_e32 v4, v4
	.loc	1 40 24                         ; attention_fwd.py:40:24
	v_sub_f32_e32 v38, v6, v105
	.loc	1 40 19                         ; attention_fwd.py:40:19
	v_cndmask_b32_e32 v6, 0, v123, vcc
	.loc	1 40 24                         ; attention_fwd.py:40:24
	v_sub_f32_e32 v23, v23, v105
	v_sub_f32_e32 v108, v9, v105
	.loc	1 40 19                         ; attention_fwd.py:40:19
	v_ldexp_f32 v9, v3, v6
	v_cndmask_b32_e64 v3, 0, v123, s[4:5]
	.loc	1 40 24                         ; attention_fwd.py:40:24
	v_sub_f32_e32 v24, v24, v105
	.loc	1 40 19                         ; attention_fwd.py:40:19
	v_ldexp_f32 v4, v4, v3
	v_mul_f32_e32 v3, 0x3fb8aa3b, v23
	v_cmp_gt_f32_e32 vcc, s6, v3
	v_mul_f32_e32 v6, 0x3fb8aa3b, v24
	v_cmp_gt_f32_e64 s[4:5], s6, v6
	v_cndmask_b32_e32 v3, 0, v120, vcc
	v_fmac_f32_e32 v3, 0x3fb8aa3b, v23
	v_cndmask_b32_e64 v6, 0, v120, s[4:5]
	v_exp_f32_e32 v3, v3
	v_fmac_f32_e32 v6, 0x3fb8aa3b, v24
	v_exp_f32_e32 v6, v6
	.loc	1 40 24                         ; attention_fwd.py:40:24
	v_sub_f32_e32 v107, v8, v105
	.loc	1 40 19                         ; attention_fwd.py:40:19
	v_cndmask_b32_e32 v8, 0, v123, vcc
	.loc	1 40 24                         ; attention_fwd.py:40:24
	v_sub_f32_e32 v25, v25, v105
	.loc	1 40 19                         ; attention_fwd.py:40:19
	v_ldexp_f32 v8, v3, v8
	v_cndmask_b32_e64 v3, 0, v123, s[4:5]
	.loc	1 40 24                         ; attention_fwd.py:40:24
	v_sub_f32_e32 v26, v26, v105
	.loc	1 40 19                         ; attention_fwd.py:40:19
	v_ldexp_f32 v3, v6, v3
	v_mul_f32_e32 v6, 0x3fb8aa3b, v25
	.loc	1 40 24                         ; attention_fwd.py:40:24
	v_sub_f32_e32 v110, v11, v105
	.loc	1 40 19                         ; attention_fwd.py:40:19
	v_cmp_gt_f32_e32 vcc, s6, v6
	v_mul_f32_e32 v11, 0x3fb8aa3b, v26
	v_cmp_gt_f32_e64 s[4:5], s6, v11
	v_cndmask_b32_e32 v6, 0, v120, vcc
	v_fmac_f32_e32 v6, 0x3fb8aa3b, v25
	v_cndmask_b32_e64 v11, 0, v120, s[4:5]
	v_exp_f32_e32 v6, v6
	v_fmac_f32_e32 v11, 0x3fb8aa3b, v26
	v_exp_f32_e32 v11, v11
	.loc	1 40 24                         ; attention_fwd.py:40:24
	v_sub_f32_e32 v111, v12, v105
	.loc	1 40 19                         ; attention_fwd.py:40:19
	v_cndmask_b32_e32 v12, 0, v123, vcc
	.loc	1 40 24                         ; attention_fwd.py:40:24
	v_sub_f32_e32 v27, v27, v105
	.loc	1 40 19                         ; attention_fwd.py:40:19
	v_ldexp_f32 v6, v6, v12
	v_cndmask_b32_e64 v12, 0, v123, s[4:5]
	.loc	1 40 24                         ; attention_fwd.py:40:24
	v_sub_f32_e32 v28, v28, v105
	v_sub_f32_e32 v114, v15, v105
	.loc	1 40 19                         ; attention_fwd.py:40:19
	v_ldexp_f32 v15, v11, v12
	v_mul_f32_e32 v11, 0x3fb8aa3b, v27
	v_cmp_gt_f32_e32 vcc, s6, v11
	v_mul_f32_e32 v12, 0x3fb8aa3b, v28
	v_cmp_gt_f32_e64 s[4:5], s6, v12
	v_cndmask_b32_e32 v11, 0, v120, vcc
	v_fmac_f32_e32 v11, 0x3fb8aa3b, v27
	v_cndmask_b32_e64 v12, 0, v120, s[4:5]
	v_exp_f32_e32 v11, v11
	v_fmac_f32_e32 v12, 0x3fb8aa3b, v28
	v_exp_f32_e32 v12, v12
	.loc	1 40 24                         ; attention_fwd.py:40:24
	v_sub_f32_e32 v112, v13, v105
	.loc	1 40 19                         ; attention_fwd.py:40:19
	v_cndmask_b32_e32 v13, 0, v123, vcc
	.loc	1 40 24                         ; attention_fwd.py:40:24
	v_sub_f32_e32 v29, v29, v105
	.loc	1 40 19                         ; attention_fwd.py:40:19
	v_ldexp_f32 v18, v11, v13
	v_cndmask_b32_e64 v11, 0, v123, s[4:5]
	.loc	1 40 24                         ; attention_fwd.py:40:24
	v_sub_f32_e32 v30, v30, v105
	.loc	1 40 19                         ; attention_fwd.py:40:19
	v_ldexp_f32 v13, v12, v11
	v_mul_f32_e32 v11, 0x3fb8aa3b, v29
	v_cmp_gt_f32_e32 vcc, s6, v11
	v_mul_f32_e32 v12, 0x3fb8aa3b, v30
	v_cmp_gt_f32_e64 s[4:5], s6, v12
	v_cndmask_b32_e32 v11, 0, v120, vcc
	v_fmac_f32_e32 v11, 0x3fb8aa3b, v29
	v_cndmask_b32_e64 v12, 0, v120, s[4:5]
	v_exp_f32_e32 v11, v11
	v_fmac_f32_e32 v12, 0x3fb8aa3b, v30
	v_exp_f32_e32 v12, v12
	.loc	1 40 24                         ; attention_fwd.py:40:24
	v_sub_f32_e32 v113, v14, v105
	.loc	1 40 19                         ; attention_fwd.py:40:19
	v_cndmask_b32_e32 v14, 0, v123, vcc
	.loc	1 40 24                         ; attention_fwd.py:40:24
	v_sub_f32_e32 v31, v31, v105
	v_sub_f32_e32 v122, v17, v105
	.loc	1 40 19                         ; attention_fwd.py:40:19
	v_ldexp_f32 v17, v11, v14
	v_cndmask_b32_e64 v11, 0, v123, s[4:5]
	.loc	1 40 24                         ; attention_fwd.py:40:24
	v_sub_f32_e32 v32, v32, v105
	.loc	1 40 19                         ; attention_fwd.py:40:19
	v_ldexp_f32 v12, v12, v11
	v_mul_f32_e32 v11, 0x3fb8aa3b, v31
	v_cmp_gt_f32_e32 vcc, s6, v11
	v_mul_f32_e32 v14, 0x3fb8aa3b, v32
	v_cmp_gt_f32_e64 s[4:5], s6, v14
	v_cndmask_b32_e32 v11, 0, v120, vcc
	v_fmac_f32_e32 v11, 0x3fb8aa3b, v31
	v_cndmask_b32_e64 v14, 0, v120, s[4:5]
	v_exp_f32_e32 v11, v11
	v_fmac_f32_e32 v14, 0x3fb8aa3b, v32
	v_exp_f32_e32 v14, v14
	.loc	1 40 24                         ; attention_fwd.py:40:24
	v_sub_f32_e32 v115, v16, v105
	.loc	1 40 19                         ; attention_fwd.py:40:19
	v_cndmask_b32_e32 v16, 0, v123, vcc
	.loc	1 40 24                         ; attention_fwd.py:40:24
	v_sub_f32_e32 v33, v33, v105
	.loc	1 40 19                         ; attention_fwd.py:40:19
	v_ldexp_f32 v16, v11, v16
	v_cndmask_b32_e64 v11, 0, v123, s[4:5]
	.loc	1 40 24                         ; attention_fwd.py:40:24
	v_sub_f32_e32 v2, v2, v105
	.loc	1 40 19                         ; attention_fwd.py:40:19
	v_ldexp_f32 v11, v14, v11
	v_mul_f32_e32 v14, 0x3fb8aa3b, v33
	v_cmp_gt_f32_e32 vcc, s6, v14
	v_mul_f32_e32 v19, 0x3fb8aa3b, v2
	v_cmp_gt_f32_e64 s[4:5], s6, v19
	v_cndmask_b32_e32 v14, 0, v120, vcc
	v_fmac_f32_e32 v14, 0x3fb8aa3b, v33
	v_cndmask_b32_e64 v19, 0, v120, s[4:5]
	v_exp_f32_e32 v14, v14
	v_fmac_f32_e32 v19, 0x3fb8aa3b, v2
	v_exp_f32_e32 v2, v19
	v_cndmask_b32_e32 v19, 0, v123, vcc
	v_ldexp_f32 v14, v14, v19
	v_cndmask_b32_e64 v19, 0, v123, s[4:5]
	v_ldexp_f32 v24, v2, v19
	v_mul_f32_e32 v2, 0x3fb8aa3b, v35
	v_cmp_gt_f32_e32 vcc, s6, v2
	v_mul_f32_e32 v19, 0x3fb8aa3b, v36
	v_cmp_gt_f32_e64 s[4:5], s6, v19
	v_cndmask_b32_e32 v2, 0, v120, vcc
	v_fmac_f32_e32 v2, 0x3fb8aa3b, v35
	v_cndmask_b32_e64 v19, 0, v120, s[4:5]
	v_exp_f32_e32 v2, v2
	v_fmac_f32_e32 v19, 0x3fb8aa3b, v36
	v_exp_f32_e32 v19, v19
	v_cndmask_b32_e32 v20, 0, v123, vcc
	v_ldexp_f32 v27, v2, v20
	v_cndmask_b32_e64 v2, 0, v123, s[4:5]
	v_ldexp_f32 v22, v19, v2
	v_mul_f32_e32 v2, 0x3fb8aa3b, v37
	v_cmp_gt_f32_e32 vcc, s6, v2
	v_mul_f32_e32 v19, 0x3fb8aa3b, v38
	v_cmp_gt_f32_e64 s[4:5], s6, v19
	v_cndmask_b32_e32 v2, 0, v120, vcc
	v_fmac_f32_e32 v2, 0x3fb8aa3b, v37
	v_cndmask_b32_e64 v19, 0, v120, s[4:5]
	v_exp_f32_e32 v2, v2
	v_fmac_f32_e32 v19, 0x3fb8aa3b, v38
	v_exp_f32_e32 v19, v19
	v_cndmask_b32_e32 v20, 0, v123, vcc
	v_ldexp_f32 v26, v2, v20
	v_cndmask_b32_e64 v2, 0, v123, s[4:5]
	v_ldexp_f32 v20, v19, v2
	v_mul_f32_e32 v2, 0x3fb8aa3b, v106
	v_cmp_gt_f32_e32 vcc, s6, v2
	v_mul_f32_e32 v19, 0x3fb8aa3b, v107
	v_cmp_gt_f32_e64 s[4:5], s6, v19
	v_cndmask_b32_e32 v2, 0, v120, vcc
	v_fmac_f32_e32 v2, 0x3fb8aa3b, v106
	v_cndmask_b32_e64 v19, 0, v120, s[4:5]
	v_exp_f32_e32 v2, v2
	v_fmac_f32_e32 v19, 0x3fb8aa3b, v107
	v_exp_f32_e32 v19, v19
	v_cndmask_b32_e32 v21, 0, v123, vcc
	v_ldexp_f32 v25, v2, v21
	v_cndmask_b32_e64 v2, 0, v123, s[4:5]
	v_ldexp_f32 v19, v19, v2
	v_mul_f32_e32 v2, 0x3fb8aa3b, v108
	v_cmp_gt_f32_e32 vcc, s6, v2
	v_mul_f32_e32 v21, 0x3fb8aa3b, v109
	v_cmp_gt_f32_e64 s[4:5], s6, v21
	v_cndmask_b32_e32 v2, 0, v120, vcc
	v_fmac_f32_e32 v2, 0x3fb8aa3b, v108
	v_cndmask_b32_e64 v21, 0, v120, s[4:5]
	v_exp_f32_e32 v2, v2
	v_fmac_f32_e32 v21, 0x3fb8aa3b, v109
	v_exp_f32_e32 v21, v21
	v_cndmask_b32_e32 v23, 0, v123, vcc
	v_ldexp_f32 v23, v2, v23
	v_cndmask_b32_e64 v2, 0, v123, s[4:5]
	v_ldexp_f32 v33, v21, v2
	v_mul_f32_e32 v2, 0x3fb8aa3b, v110
	v_cmp_gt_f32_e32 vcc, s6, v2
	v_mul_f32_e32 v21, 0x3fb8aa3b, v111
	v_cmp_gt_f32_e64 s[4:5], s6, v21
	v_cndmask_b32_e32 v2, 0, v120, vcc
	v_fmac_f32_e32 v2, 0x3fb8aa3b, v110
	v_cndmask_b32_e64 v21, 0, v120, s[4:5]
	v_exp_f32_e32 v2, v2
	v_fmac_f32_e32 v21, 0x3fb8aa3b, v111
	v_exp_f32_e32 v21, v21
	v_cndmask_b32_e32 v28, 0, v123, vcc
	v_ldexp_f32 v38, v2, v28
	v_cndmask_b32_e64 v2, 0, v123, s[4:5]
	v_ldexp_f32 v32, v21, v2
	v_mul_f32_e32 v2, 0x3fb8aa3b, v112
	v_cmp_gt_f32_e32 vcc, s6, v2
	v_mul_f32_e32 v21, 0x3fb8aa3b, v113
	v_cmp_gt_f32_e64 s[4:5], s6, v21
	v_cndmask_b32_e32 v2, 0, v120, vcc
	v_fmac_f32_e32 v2, 0x3fb8aa3b, v112
	v_cndmask_b32_e64 v21, 0, v120, s[4:5]
	v_exp_f32_e32 v2, v2
	v_fmac_f32_e32 v21, 0x3fb8aa3b, v113
	v_exp_f32_e32 v21, v21
	v_cndmask_b32_e32 v28, 0, v123, vcc
	v_ldexp_f32 v37, v2, v28
	v_cndmask_b32_e64 v2, 0, v123, s[4:5]
	v_ldexp_f32 v31, v21, v2
	v_mul_f32_e32 v2, 0x3fb8aa3b, v114
	v_cmp_gt_f32_e32 vcc, s6, v2
	v_mul_f32_e32 v21, 0x3fb8aa3b, v115
	v_cmp_gt_f32_e64 s[4:5], s6, v21
	v_cndmask_b32_e32 v2, 0, v120, vcc
	v_fmac_f32_e32 v2, 0x3fb8aa3b, v114
	v_cndmask_b32_e64 v21, 0, v120, s[4:5]
	v_exp_f32_e32 v2, v2
	v_fmac_f32_e32 v21, 0x3fb8aa3b, v115
	v_exp_f32_e32 v21, v21
	v_cndmask_b32_e32 v28, 0, v123, vcc
	v_ldexp_f32 v36, v2, v28
	v_cndmask_b32_e64 v2, 0, v123, s[4:5]
	v_ldexp_f32 v30, v21, v2
	v_mul_f32_e32 v2, 0x3fb8aa3b, v122
	.loc	1 41 29 is_stmt 1               ; attention_fwd.py:41:29
	v_sub_f32_e32 v21, 0xff800000, v105
	.loc	1 40 19                         ; attention_fwd.py:40:19
	v_cmp_gt_f32_e32 vcc, s6, v2
	.loc	1 41 23                         ; attention_fwd.py:41:23
	v_mul_f32_e32 v28, 0x3fb8aa3b, v21
	v_cmp_gt_f32_e64 s[4:5], s6, v28
	.loc	1 40 19                         ; attention_fwd.py:40:19
	v_cndmask_b32_e32 v2, 0, v120, vcc
	v_fmac_f32_e32 v2, 0x3fb8aa3b, v122
	.loc	1 41 23                         ; attention_fwd.py:41:23
	v_cndmask_b32_e64 v28, 0, v120, s[4:5]
	.loc	1 40 19                         ; attention_fwd.py:40:19
	v_exp_f32_e32 v2, v2
	.loc	1 41 23                         ; attention_fwd.py:41:23
	v_fmac_f32_e32 v28, 0x3fb8aa3b, v21
	v_exp_f32_e32 v21, v28
	.loc	1 40 19                         ; attention_fwd.py:40:19
	v_cndmask_b32_e32 v28, 0, v123, vcc
	v_ldexp_f32 v35, v2, v28
	.loc	1 41 23                         ; attention_fwd.py:41:23
	v_cndmask_b32_e64 v2, 0, v123, s[4:5]
	v_ldexp_f32 v21, v21, v2
.Ltmp5:
	.loc	2 263 15                        ; standard.py:263:15 @[ standard.py:293:36 @[ attention_fwd.py:42:38 ] ]
	v_add_f32_e32 v2, v7, v10
	v_add_f32_e32 v2, v5, v2
	;; [unrolled: 1-line block ×27, first 2 shown]
	v_lshl_add_u32 v34, v54, 2, 0
	v_add_f32_e32 v2, v31, v2
.Ltmp6:
	.loc	1 43 20                         ; attention_fwd.py:43:20
	v_readlane_b32 s4, v197, 44
.Ltmp7:
	.loc	2 263 15                        ; standard.py:263:15 @[ standard.py:293:36 @[ attention_fwd.py:42:38 ] ]
	v_add_f32_e32 v2, v36, v2
	v_add_f32_e32 v2, v30, v2
.Ltmp8:
	.loc	1 43 20                         ; attention_fwd.py:43:20
	v_add_u32_e32 v106, s4, v34
	v_readlane_b32 s4, v197, 10
.Ltmp9:
	.loc	2 263 15                        ; standard.py:263:15 @[ standard.py:293:36 @[ attention_fwd.py:42:38 ] ]
	v_add_f32_e32 v28, v35, v2
.Ltmp10:
	.loc	1 43 20                         ; attention_fwd.py:43:20
	ds_write_b32 v106, v21 offset:16384
	v_add_u32_e32 v107, s4, v34
	s_waitcnt lgkmcnt(0)
	s_barrier
	ds_read_b32 v2, v107 offset:16384
	.loc	1 45 20                         ; attention_fwd.py:45:20
	v_readlane_b32 s4, v197, 3
.Ltmp11:
	.loc	2 293 36                        ; standard.py:293:36 @[ attention_fwd.py:42:38 ]
	v_mov_b32_e32 v29, v28
.Ltmp12:
	.loc	1 45 20                         ; attention_fwd.py:45:20
	v_readlane_b32 s5, v197, 4
	s_andn2_b64 vcc, exec, s[4:5]
.Ltmp13:
	.loc	2 293 36                        ; standard.py:293:36 @[ attention_fwd.py:42:38 ]
	v_permlane32_swap_b32_e32 v28, v29
.Ltmp14:
	.loc	1 45 20                         ; attention_fwd.py:45:20
	s_cbranch_vccnz .LBB0_165
; %bb.164:
	.loc	1 0 20 is_stmt 0                ; attention_fwd.py:0:20
	v_readlane_b32 s4, v197, 5
	s_mul_i32 s4, s4, s15
	s_ashr_i32 s5, s4, 31
	v_lshl_add_u64 v[108:109], s[4:5], 1, v[52:53]
	.loc	1 45 20                         ; attention_fwd.py:45:20
	global_load_ushort v34, v[108:109], off
	s_branch .LBB0_166
.LBB0_165:
	.loc	1 0 20                          ; attention_fwd.py:0:20
	v_mov_b32_e32 v34, 0
.LBB0_166:
	.loc	1 45 20 is_stmt 1               ; attention_fwd.py:45:20
	v_readlane_b32 s4, v197, 6
	v_readlane_b32 s5, v197, 7
	s_andn2_b64 vcc, exec, s[4:5]
	v_readlane_b32 s6, v197, 43
	s_cbranch_vccnz .LBB0_168
; %bb.167:
	.loc	1 44 39                         ; attention_fwd.py:44:39
	s_mul_i32 s4, s12, s15
	.loc	1 44 21 is_stmt 0               ; attention_fwd.py:44:21
	s_ashr_i32 s5, s4, 31
	.loc	1 44 51                         ; attention_fwd.py:44:51
	v_lshl_add_u64 v[108:109], s[4:5], 1, v[52:53]
	.loc	1 45 20 is_stmt 1               ; attention_fwd.py:45:20
	global_load_ushort v122, v[108:109], off
	s_branch .LBB0_169
.LBB0_168:
	.loc	1 0 20 is_stmt 0                ; attention_fwd.py:0:20
	v_mov_b32_e32 v122, 0
.LBB0_169:
	.loc	1 45 20 is_stmt 1               ; attention_fwd.py:45:20
	v_readlane_b32 s4, v197, 8
	v_readlane_b32 s5, v197, 9
	s_andn2_b64 vcc, exec, s[4:5]
	s_cbranch_vccnz .LBB0_171
; %bb.170:
	.loc	1 44 39                         ; attention_fwd.py:44:39
	s_mul_i32 s4, s14, s15
	.loc	1 44 21 is_stmt 0               ; attention_fwd.py:44:21
	s_ashr_i32 s5, s4, 31
	.loc	1 44 51                         ; attention_fwd.py:44:51
	v_lshl_add_u64 v[108:109], s[4:5], 1, v[52:53]
	.loc	1 45 20 is_stmt 1               ; attention_fwd.py:45:20
	global_load_ushort v123, v[108:109], off
	s_branch .LBB0_172
.LBB0_171:
	.loc	1 0 20 is_stmt 0                ; attention_fwd.py:0:20
	v_mov_b32_e32 v123, 0
.LBB0_172:
	.loc	1 45 20 is_stmt 1               ; attention_fwd.py:45:20
	v_readlane_b32 s4, v197, 16
	v_readlane_b32 s5, v197, 17
	s_andn2_b64 vcc, exec, s[4:5]
	s_cbranch_vccnz .LBB0_174
; %bb.173:
	.loc	1 44 39                         ; attention_fwd.py:44:39
	s_mul_i32 s4, s96, s15
	.loc	1 44 21 is_stmt 0               ; attention_fwd.py:44:21
	s_ashr_i32 s5, s4, 31
	.loc	1 44 51                         ; attention_fwd.py:44:51
	v_lshl_add_u64 v[108:109], s[4:5], 1, v[52:53]
	.loc	1 45 20 is_stmt 1               ; attention_fwd.py:45:20
	global_load_ushort v124, v[108:109], off
	s_branch .LBB0_175
.LBB0_174:
	.loc	1 0 20 is_stmt 0                ; attention_fwd.py:0:20
	v_mov_b32_e32 v124, 0
.LBB0_175:
	.loc	1 45 20 is_stmt 1               ; attention_fwd.py:45:20
	v_readlane_b32 s4, v197, 18
	v_readlane_b32 s5, v197, 19
	;; [unrolled: 1-line block ×4, first 2 shown]
	s_andn2_b64 vcc, exec, s[4:5]
	s_cbranch_vccnz .LBB0_177
; %bb.176:
	.loc	1 44 39                         ; attention_fwd.py:44:39
	s_mul_i32 s4, s97, s15
	.loc	1 44 21 is_stmt 0               ; attention_fwd.py:44:21
	s_ashr_i32 s5, s4, 31
	.loc	1 44 51                         ; attention_fwd.py:44:51
	v_lshl_add_u64 v[108:109], s[4:5], 1, v[52:53]
	.loc	1 45 20 is_stmt 1               ; attention_fwd.py:45:20
	global_load_ushort v125, v[108:109], off
	s_branch .LBB0_178
.LBB0_177:
	.loc	1 0 20 is_stmt 0                ; attention_fwd.py:0:20
	v_mov_b32_e32 v125, 0
.LBB0_178:
	.loc	1 45 20 is_stmt 1               ; attention_fwd.py:45:20
	v_readlane_b32 s4, v197, 20
	v_readlane_b32 s62, v197, 12
	;; [unrolled: 1-line block ×6, first 2 shown]
	s_andn2_b64 vcc, exec, s[4:5]
	s_cbranch_vccnz .LBB0_180
; %bb.179:
	.loc	1 44 39                         ; attention_fwd.py:44:39
	s_mul_i32 s4, s98, s15
	.loc	1 44 21 is_stmt 0               ; attention_fwd.py:44:21
	s_ashr_i32 s5, s4, 31
	.loc	1 44 51                         ; attention_fwd.py:44:51
	v_lshl_add_u64 v[108:109], s[4:5], 1, v[52:53]
	.loc	1 45 20 is_stmt 1               ; attention_fwd.py:45:20
	global_load_ushort v142, v[108:109], off
	s_branch .LBB0_181
.LBB0_180:
	.loc	1 0 20 is_stmt 0                ; attention_fwd.py:0:20
	v_mov_b32_e32 v142, 0
.LBB0_181:
	.loc	1 45 20 is_stmt 1               ; attention_fwd.py:45:20
	v_readlane_b32 s4, v197, 23
	v_readlane_b32 s5, v197, 24
	s_andn2_b64 vcc, exec, s[4:5]
	s_cbranch_vccnz .LBB0_183
; %bb.182:
	.loc	1 44 39                         ; attention_fwd.py:44:39
	s_mul_i32 s4, s99, s15
	.loc	1 44 21 is_stmt 0               ; attention_fwd.py:44:21
	s_ashr_i32 s5, s4, 31
	.loc	1 44 51                         ; attention_fwd.py:44:51
	v_lshl_add_u64 v[108:109], s[4:5], 1, v[52:53]
	.loc	1 45 20 is_stmt 1               ; attention_fwd.py:45:20
	global_load_ushort v143, v[108:109], off
	s_branch .LBB0_184
.LBB0_183:
	.loc	1 0 20 is_stmt 0                ; attention_fwd.py:0:20
	v_mov_b32_e32 v143, 0
.LBB0_184:
	.loc	1 45 20 is_stmt 1               ; attention_fwd.py:45:20
	v_readlane_b32 s4, v197, 25
	v_readlane_b32 s5, v197, 26
	v_readlane_b32 s99, v197, 22
	s_andn2_b64 vcc, exec, s[4:5]
	s_cbranch_vccnz .LBB0_186
; %bb.185:
	.loc	1 44 39                         ; attention_fwd.py:44:39
	s_mul_i32 s4, s0, s15
	.loc	1 44 21 is_stmt 0               ; attention_fwd.py:44:21
	s_ashr_i32 s5, s4, 31
	.loc	1 44 51                         ; attention_fwd.py:44:51
	v_lshl_add_u64 v[108:109], s[4:5], 1, v[52:53]
	.loc	1 45 20 is_stmt 1               ; attention_fwd.py:45:20
	global_load_ushort v144, v[108:109], off
	s_branch .LBB0_187
.LBB0_186:
	.loc	1 0 20 is_stmt 0                ; attention_fwd.py:0:20
	v_mov_b32_e32 v144, 0
.LBB0_187:
	.loc	1 45 20 is_stmt 1               ; attention_fwd.py:45:20
	v_readlane_b32 s4, v197, 27
	v_readlane_b32 s5, v197, 28
	s_andn2_b64 vcc, exec, s[4:5]
	s_cbranch_vccnz .LBB0_189
; %bb.188:
	.loc	1 44 39                         ; attention_fwd.py:44:39
	s_mul_i32 s0, s1, s15
	.loc	1 44 21 is_stmt 0               ; attention_fwd.py:44:21
	s_ashr_i32 s1, s0, 31
	.loc	1 44 51                         ; attention_fwd.py:44:51
	v_lshl_add_u64 v[108:109], s[0:1], 1, v[52:53]
	.loc	1 45 20 is_stmt 1               ; attention_fwd.py:45:20
	global_load_ushort v145, v[108:109], off
	s_branch .LBB0_190
.LBB0_189:
	.loc	1 0 20 is_stmt 0                ; attention_fwd.py:0:20
	v_mov_b32_e32 v145, 0
.LBB0_190:
	.loc	1 45 20 is_stmt 1               ; attention_fwd.py:45:20
	v_readlane_b32 s0, v197, 29
	v_readlane_b32 s1, v197, 30
	;; [unrolled: 19-line block ×8, first 2 shown]
	s_andn2_b64 vcc, exec, s[0:1]
	s_cbranch_vccnz .LBB0_210
; %bb.209:
	.loc	1 44 39                         ; attention_fwd.py:44:39
	s_mul_i32 s0, s11, s15
	.loc	1 44 21 is_stmt 0               ; attention_fwd.py:44:21
	s_ashr_i32 s1, s0, 31
	.loc	1 44 51                         ; attention_fwd.py:44:51
	v_lshl_add_u64 v[108:109], s[0:1], 1, v[52:53]
	.loc	1 45 20 is_stmt 1               ; attention_fwd.py:45:20
	global_load_ushort v152, v[108:109], off
	s_branch .LBB0_211
.LBB0_210:
	.loc	1 0 20 is_stmt 0                ; attention_fwd.py:0:20
	v_mov_b32_e32 v152, 0
.LBB0_211:
	v_lshlrev_b32_e32 v108, 5, v0
	v_and_b32_e32 v109, 24, v56
	v_mov_b32_e32 v113, 0x210
	s_movk_i32 s0, 0x180
	v_bfe_i32 v155, v0, 3, 1
	s_movk_i32 s1, 0x108
	v_and_b32_e32 v110, 0x48, v55
	v_lshlrev_b32_e32 v111, 1, v0
	v_cndmask_b32_e64 v113, v113, 0, s[92:93]
	v_and_or_b32 v114, v108, s0, v109
	v_bitop3_b32 v109, v155, v109, s1 bitop3:0x6c
	.loc	1 46 27 is_stmt 1               ; attention_fwd.py:46:27
	v_cvt_f16_f32_e32 v7, v7
	v_and_b32_e32 v112, 32, v111
	v_bitop3_b32 v110, v110, v114, v113 bitop3:0x36
	v_lshlrev_b32_e32 v115, 1, v54
	v_and_b32_e32 v108, 0x80, v108
	s_lshr_b32 s0, s90, 1
	v_xor_b32_e32 v109, v109, v113
	v_cvt_f16_f32_e32 v10, v10
	v_or_b32_e32 v114, v110, v112
	v_xor_b32_e32 v120, v113, v115
	v_bitop3_b32 v115, s91, v113, v115 bitop3:0xf6
	v_or3_b32 v108, v108, v109, s0
	v_bitop3_b32 v109, v110, 32, v111 bitop3:0x34
	v_cvt_f16_f32_e32 v15, v15
	v_or_b32_e32 v155, v108, v112
	v_bitop3_b32 v156, v108, 32, v111 bitop3:0x34
	.loc	1 45 20                         ; attention_fwd.py:45:20
	v_add_u32_e32 v108, 0, v114
	v_add_u32_e32 v109, 0, v109
	.loc	1 46 27                         ; attention_fwd.py:46:27
	v_add_u32_e32 v110, 0, v115
	v_cvt_f16_f32_e32 v18, v18
	.loc	1 45 20                         ; attention_fwd.py:45:20
	ds_read_b64_tr_b16 v[158:159], v108 offset:8192
	ds_read_b64_tr_b16 v[162:163], v108 offset:10240
	ds_read_b64_tr_b16 v[166:167], v108 offset:12288
	ds_read_b64_tr_b16 v[170:171], v108 offset:14336
	ds_read_b64_tr_b16 v[160:161], v109 offset:9216
	ds_read_b64_tr_b16 v[164:165], v109 offset:11264
	ds_read_b64_tr_b16 v[168:169], v109 offset:13312
	ds_read_b64_tr_b16 v[172:173], v109 offset:15360
	.loc	1 46 27                         ; attention_fwd.py:46:27
	s_waitcnt lgkmcnt(0)
	s_barrier
	ds_write_b16 v110, v7 offset:16384
	ds_write_b16 v110, v10 offset:16512
	ds_write_b16 v110, v15 offset:18432
	ds_write_b16 v110, v18 offset:18560
	v_cvt_f16_f32_e32 v7, v24
	v_cvt_f16_f32_e32 v10, v27
	v_cvt_f16_f32_e32 v15, v33
	v_cvt_f16_f32_e32 v18, v38
	v_cvt_f16_f32_e32 v5, v5
	ds_write_b16 v110, v7 offset:20480
	ds_write_b16 v110, v10 offset:20608
	ds_write_b16 v110, v15 offset:22528
	ds_write_b16 v110, v18 offset:22656
	v_cvt_f16_f32_e32 v7, v9
	v_bitop3_b32 v153, s91, 8, v120 bitop3:0x36
	v_cvt_f16_f32_e32 v9, v13
	v_add_u32_e32 v111, 0, v153
	v_cvt_f16_f32_e32 v10, v17
	ds_write_b16 v111, v5 offset:16640
	ds_write_b16 v111, v7 offset:16768
	ds_write_b16 v111, v9 offset:18688
	ds_write_b16 v111, v10 offset:18816
	v_cvt_f16_f32_e32 v5, v22
	v_cvt_f16_f32_e32 v7, v26
	v_cvt_f16_f32_e32 v9, v32
	v_cvt_f16_f32_e32 v10, v37
	v_cvt_f16_f32_e32 v4, v4
	ds_write_b16 v111, v5 offset:20736
	ds_write_b16 v111, v7 offset:20864
	ds_write_b16 v111, v9 offset:22784
	ds_write_b16 v111, v10 offset:22912
	v_cvt_f16_f32_e32 v5, v8
	v_bitop3_b32 v154, s91, 32, v120 bitop3:0x36
	v_cvt_f16_f32_e32 v7, v12
	v_add_u32_e32 v112, 0, v154
	v_cvt_f16_f32_e32 v8, v16
	;; [unrolled: 18-line block ×3, first 2 shown]
	ds_write_b16 v113, v3 offset:17664
	ds_write_b16 v113, v4 offset:17792
	ds_write_b16 v113, v5 offset:19712
	ds_write_b16 v113, v6 offset:19840
	v_cvt_f16_f32_e32 v3, v19
	v_cvt_f16_f32_e32 v4, v23
	;; [unrolled: 1-line block ×4, first 2 shown]
	v_add_u32_e32 v114, 0, v155
	v_add_u32_e32 v115, 0, v156
	ds_write_b16 v113, v3 offset:21760
	ds_write_b16 v113, v4 offset:21888
	;; [unrolled: 1-line block ×4, first 2 shown]
	s_waitcnt lgkmcnt(0)
	s_barrier
	ds_read_b64_tr_b16 v[22:23], v114 offset:16384
	ds_read_b64_tr_b16 v[24:25], v115 offset:17408
	.loc	1 43 20                         ; attention_fwd.py:43:20
	v_mul_f32_e32 v2, 0, v2
	.loc	1 46 37                         ; attention_fwd.py:46:37
	v_mov_b32_e32 v3, v2
	v_mov_b32_e32 v4, v2
	;; [unrolled: 1-line block ×15, first 2 shown]
.Ltmp15:
	.loc	2 263 15                        ; standard.py:263:15 @[ standard.py:293:36 @[ attention_fwd.py:42:38 ] ]
	v_add_f32_e32 v120, v28, v29
.Ltmp16:
	.loc	1 42 28                         ; attention_fwd.py:42:28
	v_fmac_f32_e32 v120, 0, v21
	.loc	1 46 37                         ; attention_fwd.py:46:37
	s_waitcnt lgkmcnt(0)
	v_mfma_f32_32x32x16_f16 v[2:17], v[158:161], v[22:25], v[2:17]
	.loc	1 46 27 is_stmt 0               ; attention_fwd.py:46:27
	ds_read_b64_tr_b16 v[22:23], v114 offset:18432
	ds_read_b64_tr_b16 v[24:25], v115 offset:19456
	s_mov_b32 s11, 0
	.loc	1 31 32 is_stmt 1               ; attention_fwd.py:31:32
	s_cmpk_lt_u32 s99, 0x41
	.loc	1 46 37                         ; attention_fwd.py:46:37
	s_waitcnt lgkmcnt(0)
	v_mfma_f32_32x32x16_f16 v[2:17], v[162:165], v[22:25], v[2:17]
	.loc	1 46 27 is_stmt 0               ; attention_fwd.py:46:27
	ds_read_b64_tr_b16 v[22:23], v114 offset:20480
	ds_read_b64_tr_b16 v[24:25], v115 offset:21504
	.loc	1 46 37                         ; attention_fwd.py:46:37
	s_waitcnt lgkmcnt(0)
	v_mfma_f32_32x32x16_f16 v[2:17], v[166:169], v[22:25], v[2:17]
	.loc	1 46 27                         ; attention_fwd.py:46:27
	ds_read_b64_tr_b16 v[22:23], v114 offset:22528
	ds_read_b64_tr_b16 v[24:25], v115 offset:23552
	.loc	1 34 20 is_stmt 1               ; attention_fwd.py:34:20
	s_waitcnt vmcnt(0)
	ds_write_b16 v60, v39
	ds_write_b16 v60, v43 offset:2048
	ds_write_b16 v60, v47 offset:4096
	;; [unrolled: 1-line block ×15, first 2 shown]
	.loc	1 45 20                         ; attention_fwd.py:45:20
	ds_write_b16 v97, v34 offset:8192
	ds_write_b16 v97, v125 offset:10240
	;; [unrolled: 1-line block ×16, first 2 shown]
	.loc	1 46 37                         ; attention_fwd.py:46:37
	s_waitcnt lgkmcnt(14)
	v_mfma_f32_32x32x16_f16 v[2:17], v[170:173], v[22:25], v[2:17]
	.loc	1 31 32                         ; attention_fwd.py:31:32
	s_cbranch_scc1 .LBB0_306
; %bb.212:                              ; %.peel.next
	s_or_b32 s0, s6, 0xbc
	s_mul_i32 s1, s15, s0
	v_writelane_b32 v197, s1, 37
	s_lshl_b32 s1, s15, 6
	v_writelane_b32 v197, s1, 33
	s_mul_i32 s0, s13, s0
	v_writelane_b32 v197, s0, 39
	s_lshl_b32 s0, s13, 6
	v_writelane_b32 v197, s0, 35
	s_or_b32 s0, s6, 0xb8
	s_mul_i32 s1, s15, s0
	v_writelane_b32 v197, s1, 41
	s_mul_i32 s0, s13, s0
	v_writelane_b32 v197, s0, 44
	s_or_b32 s0, s6, 0xb4
	s_mul_i32 s1, s15, s0
	v_writelane_b32 v197, s1, 5
	s_mul_i32 s0, s13, s0
	;; [unrolled: 5-line block ×11, first 2 shown]
	v_writelane_b32 v197, s0, 63
	s_or_b32 s0, s6, 0x8c
	s_mul_i32 s1, s15, s0
                                        ; implicit-def: $vgpr196 : SGPR spill to VGPR lane
	s_mul_i32 s0, s13, s0
	v_writelane_b32 v196, s1, 0
	v_writelane_b32 v196, s0, 1
	s_or_b32 s0, s6, 0x88
	s_mul_i32 s1, s15, s0
	v_writelane_b32 v196, s1, 2
	s_mul_i32 s0, s13, s0
	v_writelane_b32 v196, s0, 3
	s_or_b32 s0, s6, 0x84
	s_mul_i32 s1, s15, s0
	v_writelane_b32 v196, s1, 4
	s_mul_i32 s0, s13, s0
	;; [unrolled: 5-line block ×3, first 2 shown]
	s_mov_b32 s96, 0xc2fc0000
	v_mov_b32_e32 v116, 0xff800000
	v_mov_b32_e32 v117, 0x42800000
	v_not_b32_e32 v118, 63
	s_mov_b32 s97, 0
	s_mov_b32 s98, 0
	v_mov_b32_e32 v119, v120
	v_mov_b32_e32 v121, v105
	v_writelane_b32 v196, s0, 7
	s_branch .LBB0_215
.LBB0_213:                              ;   in Loop: Header=BB0_215 Depth=1
	.loc	1 44 21                         ; attention_fwd.py:44:21
	v_readlane_b32 s0, v197, 37
	s_add_i32 s0, s0, s98
	s_ashr_i32 s1, s0, 31
	.loc	1 44 51 is_stmt 0               ; attention_fwd.py:44:51
	v_lshl_add_u64 v[172:173], s[0:1], 1, v[52:53]
	.loc	1 45 20 is_stmt 1               ; attention_fwd.py:45:20
	global_load_ushort v171, v[172:173], off
.LBB0_214:                              ;   in Loop: Header=BB0_215 Depth=1
	.loc	1 46 27                         ; attention_fwd.py:46:27
	v_cvt_f16_f32_e32 v22, v22
	v_cvt_f16_f32_e32 v26, v26
	;; [unrolled: 1-line block ×4, first 2 shown]
	.loc	1 45 20                         ; attention_fwd.py:45:20
	ds_read_b64_tr_b16 v[172:173], v108 offset:8192
	ds_read_b64_tr_b16 v[176:177], v108 offset:10240
	;; [unrolled: 1-line block ×8, first 2 shown]
	.loc	1 46 27                         ; attention_fwd.py:46:27
	s_waitcnt lgkmcnt(0)
	s_barrier
	ds_write_b16 v110, v22 offset:16384
	ds_write_b16 v110, v26 offset:16512
	ds_write_b16 v110, v30 offset:18432
	ds_write_b16 v110, v34 offset:18560
	v_cvt_f16_f32_e32 v22, v39
	v_cvt_f16_f32_e32 v26, v45
	v_cvt_f16_f32_e32 v30, v49
	v_cvt_f16_f32_e32 v34, v124
	v_cvt_f16_f32_e32 v21, v21
	ds_write_b16 v110, v22 offset:20480
	ds_write_b16 v110, v26 offset:20608
	ds_write_b16 v110, v30 offset:22528
	ds_write_b16 v110, v34 offset:22656
	v_cvt_f16_f32_e32 v22, v25
	v_cvt_f16_f32_e32 v25, v29
	v_cvt_f16_f32_e32 v26, v33
	ds_write_b16 v111, v21 offset:16640
	ds_write_b16 v111, v22 offset:16768
	ds_write_b16 v111, v25 offset:18688
	ds_write_b16 v111, v26 offset:18816
	v_cvt_f16_f32_e32 v21, v38
	v_cvt_f16_f32_e32 v22, v42
	v_cvt_f16_f32_e32 v25, v48
	v_cvt_f16_f32_e32 v26, v123
	v_cvt_f16_f32_e32 v20, v20
	ds_write_b16 v111, v21 offset:20736
	ds_write_b16 v111, v22 offset:20864
	ds_write_b16 v111, v25 offset:22784
	ds_write_b16 v111, v26 offset:22912
	v_cvt_f16_f32_e32 v21, v24
	v_cvt_f16_f32_e32 v22, v28
	v_cvt_f16_f32_e32 v24, v32
	ds_write_b16 v112, v20 offset:17408
	ds_write_b16 v112, v21 offset:17536
	ds_write_b16 v112, v22 offset:19456
	ds_write_b16 v112, v24 offset:19584
	v_cvt_f16_f32_e32 v20, v37
	v_cvt_f16_f32_e32 v21, v41
	v_cvt_f16_f32_e32 v22, v47
	v_cvt_f16_f32_e32 v24, v122
	v_cvt_f16_f32_e32 v19, v19
	ds_write_b16 v112, v20 offset:21504
	ds_write_b16 v112, v21 offset:21632
	ds_write_b16 v112, v22 offset:23552
	ds_write_b16 v112, v24 offset:23680
	v_cvt_f16_f32_e32 v20, v23
	v_cvt_f16_f32_e32 v21, v27
	v_cvt_f16_f32_e32 v22, v31
	ds_write_b16 v113, v19 offset:17664
	ds_write_b16 v113, v20 offset:17792
	;; [unrolled: 1-line block ×4, first 2 shown]
	v_cvt_f16_f32_e32 v19, v36
	v_cvt_f16_f32_e32 v20, v40
	;; [unrolled: 1-line block ×4, first 2 shown]
	ds_write_b16 v113, v19 offset:21760
	ds_write_b16 v113, v20 offset:21888
	;; [unrolled: 1-line block ×4, first 2 shown]
	s_waitcnt lgkmcnt(0)
	s_barrier
	ds_read_b64_tr_b16 v[20:21], v114 offset:16384
	ds_read_b64_tr_b16 v[24:25], v114 offset:18432
	;; [unrolled: 1-line block ×8, first 2 shown]
	.loc	1 46 37 is_stmt 0               ; attention_fwd.py:46:37
	v_pk_mul_f32 v[16:17], v[16:17], v[18:19] op_sel_hi:[1,0]
	v_pk_mul_f32 v[14:15], v[14:15], v[18:19] op_sel_hi:[1,0]
	;; [unrolled: 1-line block ×8, first 2 shown]
	.loc	1 31 32 is_stmt 1               ; attention_fwd.py:31:32
	v_readlane_b32 s2, v197, 33
.Ltmp17:
	.loc	2 263 15                        ; standard.py:263:15 @[ standard.py:293:36 @[ attention_fwd.py:42:38 ] ]
	v_add_f32_e32 v120, v43, v44
.Ltmp18:
	.loc	1 46 37                         ; attention_fwd.py:46:37
	s_waitcnt lgkmcnt(3)
	v_mfma_f32_32x32x16_f16 v[2:17], v[172:175], v[20:23], v[2:17]
	.loc	1 31 32                         ; attention_fwd.py:31:32
	s_add_i32 s98, s98, s2
	v_readlane_b32 s2, v197, 35
	.loc	1 42 28                         ; attention_fwd.py:42:28
	v_fmac_f32_e32 v120, v119, v35
	.loc	1 31 32                         ; attention_fwd.py:31:32
	s_add_i32 s0, s11, 64
	s_add_i32 s1, s11, 0x80
	;; [unrolled: 1-line block ×3, first 2 shown]
	.loc	1 34 20                         ; attention_fwd.py:34:20
	s_waitcnt vmcnt(0)
	ds_write_b16 v60, v125
	ds_write_b16 v60, v145 offset:2048
	ds_write_b16 v60, v149 offset:4096
	;; [unrolled: 1-line block ×15, first 2 shown]
	.loc	1 45 20                         ; attention_fwd.py:45:20
	ds_write_b16 v97, v121 offset:8192
	ds_write_b16 v97, v160 offset:10240
	;; [unrolled: 1-line block ×16, first 2 shown]
	.loc	1 46 37                         ; attention_fwd.py:46:37
	s_waitcnt lgkmcnt(14)
	v_mfma_f32_32x32x16_f16 v[2:17], v[176:179], v[24:27], v[2:17]
	.loc	1 31 32                         ; attention_fwd.py:31:32
	s_cmp_lt_i32 s1, s99
	s_mov_b32 s11, s0
	v_mov_b32_e32 v119, v120
	v_mov_b32_e32 v121, v105
	.loc	1 46 37                         ; attention_fwd.py:46:37
	v_mfma_f32_32x32x16_f16 v[2:17], v[180:183], v[28:31], v[2:17]
	v_mfma_f32_32x32x16_f16 v[2:17], v[184:187], v[36:39], v[2:17]
	.loc	1 31 32                         ; attention_fwd.py:31:32
	s_cbranch_scc0 .LBB0_305
.LBB0_215:                              ; =>This Inner Loop Header: Depth=1
	.loc	1 32 27                         ; attention_fwd.py:32:27
	s_add_i32 s4, s6, s11
	s_add_i32 s0, s4, 0x80
	.loc	1 34 51                         ; attention_fwd.py:34:51
	s_cmp_lt_i32 s0, s33
	s_cselect_b64 s[2:3], -1, 0
	v_writelane_b32 v197, s2, 3
	s_cmp_ge_i32 s0, s33
	s_nop 0
	v_writelane_b32 v197, s3, 4
	.loc	1 34 20 is_stmt 0               ; attention_fwd.py:34:20
	s_cbranch_scc1 .LBB0_217
; %bb.216:                              ;   in Loop: Header=BB0_215 Depth=1
	.loc	1 0 20                          ; attention_fwd.py:0:20
	v_readlane_b32 s0, v196, 7
	s_add_i32 s0, s0, s97
	s_ashr_i32 s1, s0, 31
	v_lshl_add_u64 v[18:19], s[0:1], 1, v[50:51]
	.loc	1 34 20                         ; attention_fwd.py:34:20
	global_load_ushort v125, v[18:19], off
	s_branch .LBB0_218
.LBB0_217:                              ;   in Loop: Header=BB0_215 Depth=1
	.loc	1 0 20                          ; attention_fwd.py:0:20
	v_mov_b32_e32 v125, 0
.LBB0_218:                              ;   in Loop: Header=BB0_215 Depth=1
	.loc	1 32 27 is_stmt 1               ; attention_fwd.py:32:27
	s_add_i32 s0, s4, 0x84
	.loc	1 34 51                         ; attention_fwd.py:34:51
	s_cmp_lt_i32 s0, s33
	s_cselect_b64 s[2:3], -1, 0
	v_writelane_b32 v197, s2, 6
	s_cmp_ge_i32 s0, s33
	s_nop 0
	v_writelane_b32 v197, s3, 7
	.loc	1 34 20 is_stmt 0               ; attention_fwd.py:34:20
	s_cbranch_scc1 .LBB0_220
; %bb.219:                              ;   in Loop: Header=BB0_215 Depth=1
	.loc	1 33 39 is_stmt 1               ; attention_fwd.py:33:39
	v_readlane_b32 s0, v196, 5
	s_add_i32 s0, s0, s97
	.loc	1 33 21 is_stmt 0               ; attention_fwd.py:33:21
	s_ashr_i32 s1, s0, 31
	.loc	1 33 51                         ; attention_fwd.py:33:51
	v_lshl_add_u64 v[18:19], s[0:1], 1, v[50:51]
	.loc	1 34 20 is_stmt 1               ; attention_fwd.py:34:20
	global_load_ushort v142, v[18:19], off
	s_branch .LBB0_221
.LBB0_220:                              ;   in Loop: Header=BB0_215 Depth=1
	.loc	1 0 20 is_stmt 0                ; attention_fwd.py:0:20
	v_mov_b32_e32 v142, 0
.LBB0_221:                              ;   in Loop: Header=BB0_215 Depth=1
	.loc	1 32 27 is_stmt 1               ; attention_fwd.py:32:27
	s_add_i32 s0, s4, 0x88
	.loc	1 34 51                         ; attention_fwd.py:34:51
	s_cmp_lt_i32 s0, s33
	s_cselect_b64 s[2:3], -1, 0
	v_writelane_b32 v197, s2, 8
	s_cmp_ge_i32 s0, s33
	s_nop 0
	v_writelane_b32 v197, s3, 9
	.loc	1 34 20 is_stmt 0               ; attention_fwd.py:34:20
	s_cbranch_scc1 .LBB0_223
; %bb.222:                              ;   in Loop: Header=BB0_215 Depth=1
	.loc	1 33 39 is_stmt 1               ; attention_fwd.py:33:39
	v_readlane_b32 s0, v196, 3
	s_add_i32 s0, s0, s97
	.loc	1 33 21 is_stmt 0               ; attention_fwd.py:33:21
	s_ashr_i32 s1, s0, 31
	.loc	1 33 51                         ; attention_fwd.py:33:51
	v_lshl_add_u64 v[18:19], s[0:1], 1, v[50:51]
	.loc	1 34 20 is_stmt 1               ; attention_fwd.py:34:20
	global_load_ushort v143, v[18:19], off
	s_branch .LBB0_224
.LBB0_223:                              ;   in Loop: Header=BB0_215 Depth=1
	.loc	1 0 20 is_stmt 0                ; attention_fwd.py:0:20
	v_mov_b32_e32 v143, 0
.LBB0_224:                              ;   in Loop: Header=BB0_215 Depth=1
	;; [unrolled: 26-line block ×10, first 2 shown]
	.loc	1 32 27 is_stmt 1               ; attention_fwd.py:32:27
	s_add_i32 s0, s4, 0xac
	.loc	1 34 51                         ; attention_fwd.py:34:51
	s_cmp_lt_i32 s0, s33
	s_cselect_b64 s[2:3], -1, 0
	s_cmp_ge_i32 s0, s33
	.loc	1 34 20 is_stmt 0               ; attention_fwd.py:34:20
	s_cbranch_scc1 .LBB0_250
; %bb.249:                              ;   in Loop: Header=BB0_215 Depth=1
	.loc	1 33 39 is_stmt 1               ; attention_fwd.py:33:39
	v_readlane_b32 s0, v197, 49
	s_add_i32 s0, s0, s97
	.loc	1 33 21 is_stmt 0               ; attention_fwd.py:33:21
	s_ashr_i32 s1, s0, 31
	.loc	1 33 51                         ; attention_fwd.py:33:51
	v_lshl_add_u64 v[18:19], s[0:1], 1, v[50:51]
	.loc	1 34 20 is_stmt 1               ; attention_fwd.py:34:20
	global_load_ushort v152, v[18:19], off
	s_branch .LBB0_251
.LBB0_250:                              ;   in Loop: Header=BB0_215 Depth=1
	.loc	1 0 20 is_stmt 0                ; attention_fwd.py:0:20
	v_mov_b32_e32 v152, 0
.LBB0_251:                              ;   in Loop: Header=BB0_215 Depth=1
	.loc	1 32 27 is_stmt 1               ; attention_fwd.py:32:27
	s_add_i32 s0, s4, 0xb0
	.loc	1 34 51                         ; attention_fwd.py:34:51
	s_cmp_lt_i32 s0, s33
	s_cselect_b64 s[8:9], -1, 0
	s_cmp_ge_i32 s0, s33
	.loc	1 34 20 is_stmt 0               ; attention_fwd.py:34:20
	s_cbranch_scc1 .LBB0_253
; %bb.252:                              ;   in Loop: Header=BB0_215 Depth=1
	.loc	1 33 39 is_stmt 1               ; attention_fwd.py:33:39
	v_readlane_b32 s0, v197, 47
	s_add_i32 s0, s0, s97
	.loc	1 33 21 is_stmt 0               ; attention_fwd.py:33:21
	s_ashr_i32 s1, s0, 31
	.loc	1 33 51                         ; attention_fwd.py:33:51
	v_lshl_add_u64 v[18:19], s[0:1], 1, v[50:51]
	.loc	1 34 20 is_stmt 1               ; attention_fwd.py:34:20
	global_load_ushort v153, v[18:19], off
	s_branch .LBB0_254
.LBB0_253:                              ;   in Loop: Header=BB0_215 Depth=1
	.loc	1 0 20 is_stmt 0                ; attention_fwd.py:0:20
	v_mov_b32_e32 v153, 0
.LBB0_254:                              ;   in Loop: Header=BB0_215 Depth=1
	;; [unrolled: 23-line block ×4, first 2 shown]
	.loc	1 32 27 is_stmt 1               ; attention_fwd.py:32:27
	s_addk_i32 s4, 0xbc
	.loc	1 34 51                         ; attention_fwd.py:34:51
	s_cmp_lt_i32 s4, s33
	s_cselect_b64 s[94:95], -1, 0
	s_cmp_ge_i32 s4, s33
	.loc	1 34 20 is_stmt 0               ; attention_fwd.py:34:20
	s_cbranch_scc1 .LBB0_262
; %bb.261:                              ;   in Loop: Header=BB0_215 Depth=1
	.loc	1 33 21 is_stmt 1               ; attention_fwd.py:33:21
	v_readlane_b32 s4, v197, 39
	s_add_i32 s4, s4, s97
	s_ashr_i32 s5, s4, 31
	.loc	1 33 51 is_stmt 0               ; attention_fwd.py:33:51
	v_lshl_add_u64 v[18:19], s[4:5], 1, v[50:51]
	.loc	1 34 20 is_stmt 1               ; attention_fwd.py:34:20
	global_load_ushort v156, v[18:19], off
	s_branch .LBB0_263
.LBB0_262:                              ;   in Loop: Header=BB0_215 Depth=1
	.loc	1 0 20 is_stmt 0                ; attention_fwd.py:0:20
	v_mov_b32_e32 v156, 0
.LBB0_263:                              ;   in Loop: Header=BB0_215 Depth=1
	.loc	1 35 23 is_stmt 1               ; attention_fwd.py:35:23
	s_waitcnt lgkmcnt(0)
	s_barrier
	ds_read_b128 v[34:37], v101
	ds_read_b128 v[176:179], v101 offset:4096
	ds_read_b128 v[38:41], v102
	.loc	1 32 27                         ; attention_fwd.py:32:27
	v_add_u32_e32 v105, s11, v65
	v_add_u32_e32 v120, 64, v105
	;; [unrolled: 1-line block ×5, first 2 shown]
	.loc	1 35 23                         ; attention_fwd.py:35:23
	s_waitcnt lgkmcnt(2)
	v_mfma_f32_32x32x16_f16 v[18:33], v[34:37], v[134:137], 0
	ds_read_b128 v[184:187], v102 offset:4096
	ds_read_b128 v[34:37], v103
	ds_read_b128 v[188:191], v103 offset:4096
	ds_read_b128 v[42:45], v104
	ds_read_b128 v[192:195], v104 offset:4096
	.loc	1 36 40                         ; attention_fwd.py:36:40
	v_cmp_le_i32_e64 s[60:61], s33, v120
	v_cmp_le_i32_e64 s[62:63], s33, v122
	.loc	1 38 45                         ; attention_fwd.py:38:45
	v_cmp_lt_i32_e64 s[72:73], v64, v120
	v_cmp_lt_i32_e64 s[74:75], v64, v122
	.loc	1 32 27                         ; attention_fwd.py:32:27
	v_add_u32_e32 v157, 0x48, v105
	v_add_u32_e32 v158, 0x49, v105
	.loc	1 35 23                         ; attention_fwd.py:35:23
	s_waitcnt lgkmcnt(5)
	v_mfma_f32_32x32x16_f16 v[18:33], v[38:41], v[126:129], v[18:33]
	.loc	1 32 27                         ; attention_fwd.py:32:27
	v_add_u32_e32 v163, 0x52, v105
	.loc	1 36 40                         ; attention_fwd.py:36:40
	v_cmp_le_i32_e64 s[64:65], s33, v123
	v_cmp_le_i32_e64 s[66:67], s33, v124
	.loc	1 38 45                         ; attention_fwd.py:38:45
	v_cmp_lt_i32_e64 s[76:77], v64, v123
	v_cmp_lt_i32_e64 s[78:79], v64, v124
	.loc	1 38 66 is_stmt 0               ; attention_fwd.py:38:66
	s_or_b64 s[60:61], s[72:73], s[60:61]
	s_or_b64 s[62:63], s[74:75], s[62:63]
	.loc	1 35 23 is_stmt 1               ; attention_fwd.py:35:23
	s_waitcnt lgkmcnt(3)
	v_mfma_f32_32x32x16_f16 v[18:33], v[34:37], v[138:141], v[18:33]
	.loc	1 32 27                         ; attention_fwd.py:32:27
	v_add_u32_e32 v159, 0x4a, v105
	v_add_u32_e32 v160, 0x4b, v105
	;; [unrolled: 1-line block ×7, first 2 shown]
	.loc	1 35 23                         ; attention_fwd.py:35:23
	s_waitcnt lgkmcnt(1)
	v_mfma_f32_32x32x16_f16 v[18:33], v[42:45], v[130:133], v[18:33]
	.loc	1 32 27                         ; attention_fwd.py:32:27
	v_add_u32_e32 v167, 0x5a, v105
	v_add_u32_e32 v168, 0x5b, v105
	;; [unrolled: 1-line block ×7, first 2 shown]
	.loc	1 35 23                         ; attention_fwd.py:35:23
	v_mfma_f32_32x32x16_f16 v[34:49], v[176:179], v[134:137], 0
	.loc	1 35 38 is_stmt 0               ; attention_fwd.py:35:38
	s_nop 3
	v_mul_f32_e32 v18, s10, v18
	v_mul_f32_e32 v19, s10, v19
	.loc	1 32 27 is_stmt 1               ; attention_fwd.py:32:27
	v_add_u32_e32 v174, 0x69, v105
	v_add_u32_e32 v175, 0x6a, v105
	v_add_u32_e32 v176, 0x6b, v105
	v_add_u32_e32 v177, 0x70, v105
	v_add_u32_e32 v178, 0x71, v105
	.loc	1 35 23                         ; attention_fwd.py:35:23
	v_mfma_f32_32x32x16_f16 v[34:49], v[184:187], v[126:129], v[34:49]
	.loc	1 32 27                         ; attention_fwd.py:32:27
	v_add_u32_e32 v179, 0x72, v105
	v_add_u32_e32 v180, 0x73, v105
	;; [unrolled: 1-line block ×5, first 2 shown]
	.loc	1 33 39                         ; attention_fwd.py:33:39
	v_add_u32_e32 v105, 0x7b, v105
	.loc	1 35 38                         ; attention_fwd.py:35:38
	v_mul_f32_e32 v20, s10, v20
	.loc	1 35 23 is_stmt 0               ; attention_fwd.py:35:23
	v_mfma_f32_32x32x16_f16 v[34:49], v[188:191], v[138:141], v[34:49]
	.loc	1 35 38                         ; attention_fwd.py:35:38
	v_mul_f32_e32 v21, s10, v21
	.loc	1 36 40 is_stmt 1               ; attention_fwd.py:36:40
	v_cmp_le_i32_e64 s[68:69], s33, v157
	v_cmp_le_i32_e64 s[70:71], s33, v158
	v_cmp_le_i32_e64 s[48:49], s33, v163
	.loc	1 38 45                         ; attention_fwd.py:38:45
	v_cmp_lt_i32_e64 s[80:81], v64, v157
	v_cmp_lt_i32_e64 s[82:83], v64, v158
	.loc	1 38 66 is_stmt 0               ; attention_fwd.py:38:66
	v_cndmask_b32_e64 v18, v18, v116, s[60:61]
	.loc	1 35 23 is_stmt 1               ; attention_fwd.py:35:23
	s_waitcnt lgkmcnt(0)
	v_mfma_f32_32x32x16_f16 v[34:49], v[192:195], v[130:133], v[34:49]
	.loc	1 38 45                         ; attention_fwd.py:38:45
	v_cmp_lt_i32_e64 s[60:61], v64, v163
	.loc	1 38 66 is_stmt 0               ; attention_fwd.py:38:66
	v_cndmask_b32_e64 v19, v19, v116, s[62:63]
	s_or_b64 s[64:65], s[76:77], s[64:65]
	s_or_b64 s[66:67], s[78:79], s[66:67]
	.loc	1 35 38 is_stmt 1               ; attention_fwd.py:35:38
	v_mul_f32_e32 v22, s10, v22
	v_mul_f32_e32 v23, s10, v23
	.loc	1 36 40                         ; attention_fwd.py:36:40
	v_cmp_le_i32_e64 s[56:57], s33, v159
	v_cmp_le_i32_e64 s[54:55], s33, v160
	v_cmp_le_i32_e32 vcc, s33, v105
	.loc	1 38 45                         ; attention_fwd.py:38:45
	v_cmp_lt_i32_e64 s[84:85], v64, v159
	v_cmp_lt_i32_e64 s[86:87], v64, v160
	.loc	1 38 66 is_stmt 0               ; attention_fwd.py:38:66
	v_cndmask_b32_e64 v20, v20, v116, s[64:65]
	v_cndmask_b32_e64 v21, v21, v116, s[66:67]
	s_or_b64 s[68:69], s[80:81], s[68:69]
	s_or_b64 s[70:71], s[82:83], s[70:71]
	;; [unrolled: 1-line block ×3, first 2 shown]
	.loc	1 38 45                         ; attention_fwd.py:38:45
	v_cmp_lt_i32_e64 s[60:61], v64, v105
.Ltmp19:
	.loc	2 170 27 is_stmt 1              ; standard.py:170:27 @[ standard.py:191:40 @[ attention_fwd.py:39:42 ] ]
	v_max_f32_e32 v105, v18, v19
.Ltmp20:
	.loc	1 35 38                         ; attention_fwd.py:35:38
	v_mul_f32_e32 v24, s10, v24
	v_mul_f32_e32 v25, s10, v25
	.loc	1 36 40                         ; attention_fwd.py:36:40
	v_cmp_le_i32_e64 s[52:53], s33, v161
	v_cmp_le_i32_e64 s[50:51], s33, v162
	.loc	1 38 45                         ; attention_fwd.py:38:45
	v_cmp_lt_i32_e64 s[88:89], v64, v161
	v_cmp_lt_i32_e64 s[90:91], v64, v162
	.loc	1 38 66 is_stmt 0               ; attention_fwd.py:38:66
	v_cndmask_b32_e64 v22, v22, v116, s[68:69]
	v_cndmask_b32_e64 v23, v23, v116, s[70:71]
	s_or_b64 s[56:57], s[84:85], s[56:57]
	s_or_b64 s[54:55], s[86:87], s[54:55]
.Ltmp21:
	.loc	2 170 27 is_stmt 1              ; standard.py:170:27 @[ standard.py:191:40 @[ attention_fwd.py:39:42 ] ]
	v_max3_f32 v105, v105, v20, v21
.Ltmp22:
	.loc	1 35 38                         ; attention_fwd.py:35:38
	v_mul_f32_e32 v26, s10, v26
	v_mul_f32_e32 v27, s10, v27
	.loc	1 36 40                         ; attention_fwd.py:36:40
	v_cmp_le_i32_e64 s[46:47], s33, v164
	.loc	1 38 45                         ; attention_fwd.py:38:45
	v_cmp_lt_i32_e64 s[72:73], v64, v164
	.loc	1 38 66 is_stmt 0               ; attention_fwd.py:38:66
	v_cndmask_b32_e64 v24, v24, v116, s[56:57]
	v_cndmask_b32_e64 v25, v25, v116, s[54:55]
	s_or_b64 s[52:53], s[88:89], s[52:53]
	s_or_b64 s[50:51], s[90:91], s[50:51]
.Ltmp23:
	.loc	2 170 27 is_stmt 1              ; standard.py:170:27 @[ standard.py:191:40 @[ attention_fwd.py:39:42 ] ]
	v_max3_f32 v105, v105, v22, v23
.Ltmp24:
	.loc	1 35 38                         ; attention_fwd.py:35:38
	v_mul_f32_e32 v28, s10, v28
	v_mul_f32_e32 v29, s10, v29
	.loc	1 36 40                         ; attention_fwd.py:36:40
	v_cmp_le_i32_e64 s[44:45], s33, v165
	v_cmp_le_i32_e64 s[42:43], s33, v166
	.loc	1 38 45                         ; attention_fwd.py:38:45
	v_cmp_lt_i32_e64 s[62:63], v64, v165
	v_cmp_lt_i32_e64 s[74:75], v64, v166
	.loc	1 38 66 is_stmt 0               ; attention_fwd.py:38:66
	v_cndmask_b32_e64 v26, v26, v116, s[52:53]
	v_cndmask_b32_e64 v27, v27, v116, s[50:51]
	s_or_b64 s[46:47], s[72:73], s[46:47]
.Ltmp25:
	.loc	2 170 27 is_stmt 1              ; standard.py:170:27 @[ standard.py:191:40 @[ attention_fwd.py:39:42 ] ]
	v_max3_f32 v105, v105, v24, v25
.Ltmp26:
	.loc	1 35 38                         ; attention_fwd.py:35:38
	v_mul_f32_e32 v30, s10, v30
	v_mul_f32_e32 v31, s10, v31
	.loc	1 36 40                         ; attention_fwd.py:36:40
	v_cmp_le_i32_e64 s[40:41], s33, v167
	v_cmp_le_i32_e64 s[38:39], s33, v168
	.loc	1 38 45                         ; attention_fwd.py:38:45
	v_cmp_lt_i32_e64 s[64:65], v64, v167
	v_cmp_lt_i32_e64 s[76:77], v64, v168
	.loc	1 38 66 is_stmt 0               ; attention_fwd.py:38:66
	v_cndmask_b32_e64 v28, v28, v116, s[48:49]
	v_cndmask_b32_e64 v29, v29, v116, s[46:47]
	s_or_b64 s[44:45], s[62:63], s[44:45]
	s_or_b64 s[42:43], s[74:75], s[42:43]
.Ltmp27:
	.loc	2 170 27 is_stmt 1              ; standard.py:170:27 @[ standard.py:191:40 @[ attention_fwd.py:39:42 ] ]
	v_max3_f32 v105, v105, v26, v27
.Ltmp28:
	.loc	1 35 38                         ; attention_fwd.py:35:38
	v_mul_f32_e32 v32, s10, v32
	v_mul_f32_e32 v33, s10, v33
	.loc	1 36 40                         ; attention_fwd.py:36:40
	v_cmp_le_i32_e64 s[36:37], s33, v169
	v_cmp_le_i32_e64 s[34:35], s33, v170
	.loc	1 38 45                         ; attention_fwd.py:38:45
	v_cmp_lt_i32_e64 s[66:67], v64, v169
	v_cmp_lt_i32_e64 s[78:79], v64, v170
	.loc	1 38 66 is_stmt 0               ; attention_fwd.py:38:66
	v_cndmask_b32_e64 v30, v30, v116, s[44:45]
	v_cndmask_b32_e64 v31, v31, v116, s[42:43]
	s_or_b64 s[40:41], s[64:65], s[40:41]
	s_or_b64 s[38:39], s[76:77], s[38:39]
.Ltmp29:
	.loc	2 170 27 is_stmt 1              ; standard.py:170:27 @[ standard.py:191:40 @[ attention_fwd.py:39:42 ] ]
	v_max3_f32 v105, v105, v28, v29
.Ltmp30:
	.loc	1 35 38                         ; attention_fwd.py:35:38
	v_mul_f32_e32 v34, s10, v34
	v_mul_f32_e32 v35, s10, v35
	.loc	1 36 40                         ; attention_fwd.py:36:40
	v_cmp_le_i32_e64 s[30:31], s33, v171
	v_cmp_le_i32_e64 s[28:29], s33, v172
	.loc	1 38 45                         ; attention_fwd.py:38:45
	v_cmp_lt_i32_e64 s[68:69], v64, v171
	v_cmp_lt_i32_e64 s[80:81], v64, v172
	.loc	1 38 66 is_stmt 0               ; attention_fwd.py:38:66
	v_cndmask_b32_e64 v32, v32, v116, s[40:41]
	v_cndmask_b32_e64 v33, v33, v116, s[38:39]
	s_or_b64 s[36:37], s[66:67], s[36:37]
	s_or_b64 s[34:35], s[78:79], s[34:35]
.Ltmp31:
	.loc	2 170 27 is_stmt 1              ; standard.py:170:27 @[ standard.py:191:40 @[ attention_fwd.py:39:42 ] ]
	v_max3_f32 v105, v105, v30, v31
.Ltmp32:
	.loc	1 35 38                         ; attention_fwd.py:35:38
	v_mul_f32_e32 v36, s10, v36
	v_mul_f32_e32 v37, s10, v37
	.loc	1 36 40                         ; attention_fwd.py:36:40
	v_cmp_le_i32_e64 s[26:27], s33, v173
	v_cmp_le_i32_e64 s[24:25], s33, v174
	.loc	1 38 45                         ; attention_fwd.py:38:45
	v_cmp_lt_i32_e64 s[70:71], v64, v173
	v_cmp_lt_i32_e64 s[82:83], v64, v174
	.loc	1 38 66 is_stmt 0               ; attention_fwd.py:38:66
	v_cndmask_b32_e64 v34, v34, v116, s[36:37]
	v_cndmask_b32_e64 v35, v35, v116, s[34:35]
	s_or_b64 s[30:31], s[68:69], s[30:31]
	s_or_b64 s[28:29], s[80:81], s[28:29]
.Ltmp33:
	.loc	2 170 27 is_stmt 1              ; standard.py:170:27 @[ standard.py:191:40 @[ attention_fwd.py:39:42 ] ]
	v_max3_f32 v105, v105, v32, v33
.Ltmp34:
	.loc	1 35 38                         ; attention_fwd.py:35:38
	v_mul_f32_e32 v38, s10, v38
	v_mul_f32_e32 v39, s10, v39
	.loc	1 36 40                         ; attention_fwd.py:36:40
	v_cmp_le_i32_e64 s[22:23], s33, v175
	v_cmp_le_i32_e64 s[20:21], s33, v176
	.loc	1 38 45                         ; attention_fwd.py:38:45
	v_cmp_lt_i32_e64 s[56:57], v64, v175
	v_cmp_lt_i32_e64 s[84:85], v64, v176
	.loc	1 38 66 is_stmt 0               ; attention_fwd.py:38:66
	v_cndmask_b32_e64 v36, v36, v116, s[30:31]
	v_cndmask_b32_e64 v37, v37, v116, s[28:29]
	s_or_b64 s[26:27], s[70:71], s[26:27]
	s_or_b64 s[24:25], s[82:83], s[24:25]
.Ltmp35:
	.loc	2 170 27 is_stmt 1              ; standard.py:170:27 @[ standard.py:191:40 @[ attention_fwd.py:39:42 ] ]
	v_max3_f32 v105, v105, v34, v35
.Ltmp36:
	.loc	1 35 38                         ; attention_fwd.py:35:38
	v_mul_f32_e32 v40, s10, v40
	v_mul_f32_e32 v41, s10, v41
	.loc	1 36 40                         ; attention_fwd.py:36:40
	v_cmp_le_i32_e64 s[18:19], s33, v177
	v_cmp_le_i32_e64 s[16:17], s33, v178
	.loc	1 38 45                         ; attention_fwd.py:38:45
	v_cmp_lt_i32_e64 s[54:55], v64, v177
	v_cmp_lt_i32_e64 s[86:87], v64, v178
	.loc	1 38 66 is_stmt 0               ; attention_fwd.py:38:66
	v_cndmask_b32_e64 v38, v38, v116, s[26:27]
	v_cndmask_b32_e64 v39, v39, v116, s[24:25]
	s_or_b64 s[22:23], s[56:57], s[22:23]
	s_or_b64 s[20:21], s[84:85], s[20:21]
.Ltmp37:
	.loc	2 170 27 is_stmt 1              ; standard.py:170:27 @[ standard.py:191:40 @[ attention_fwd.py:39:42 ] ]
	v_max3_f32 v105, v105, v36, v37
.Ltmp38:
	.loc	1 35 38                         ; attention_fwd.py:35:38
	v_mul_f32_e32 v42, s10, v42
	v_mul_f32_e32 v43, s10, v43
	.loc	1 36 40                         ; attention_fwd.py:36:40
	v_cmp_le_i32_e64 s[14:15], s33, v179
	v_cmp_le_i32_e64 s[12:13], s33, v180
	.loc	1 38 45                         ; attention_fwd.py:38:45
	v_cmp_lt_i32_e64 s[52:53], v64, v179
	v_cmp_lt_i32_e64 s[88:89], v64, v180
	.loc	1 38 66 is_stmt 0               ; attention_fwd.py:38:66
	v_cndmask_b32_e64 v40, v40, v116, s[22:23]
	v_cndmask_b32_e64 v41, v41, v116, s[20:21]
	s_or_b64 s[18:19], s[54:55], s[18:19]
	s_or_b64 s[16:17], s[86:87], s[16:17]
.Ltmp39:
	.loc	2 170 27 is_stmt 1              ; standard.py:170:27 @[ standard.py:191:40 @[ attention_fwd.py:39:42 ] ]
	v_max3_f32 v105, v105, v38, v39
.Ltmp40:
	.loc	1 35 38                         ; attention_fwd.py:35:38
	v_mul_f32_e32 v44, s10, v44
	v_mul_f32_e32 v45, s10, v45
	.loc	1 36 40                         ; attention_fwd.py:36:40
	v_cmp_le_i32_e64 s[58:59], s33, v181
	v_cmp_le_i32_e64 s[6:7], s33, v182
	.loc	1 38 45                         ; attention_fwd.py:38:45
	v_cmp_lt_i32_e64 s[50:51], v64, v181
	v_cmp_lt_i32_e64 s[90:91], v64, v182
	.loc	1 38 66 is_stmt 0               ; attention_fwd.py:38:66
	v_cndmask_b32_e64 v42, v42, v116, s[18:19]
	v_cndmask_b32_e64 v43, v43, v116, s[16:17]
	s_or_b64 s[14:15], s[52:53], s[14:15]
	s_or_b64 s[12:13], s[88:89], s[12:13]
.Ltmp41:
	.loc	2 170 27 is_stmt 1              ; standard.py:170:27 @[ standard.py:191:40 @[ attention_fwd.py:39:42 ] ]
	v_max3_f32 v105, v105, v40, v41
.Ltmp42:
	.loc	1 35 38                         ; attention_fwd.py:35:38
	v_mul_f32_e32 v46, s10, v46
	v_mul_f32_e32 v47, s10, v47
	.loc	1 36 40                         ; attention_fwd.py:36:40
	v_cmp_le_i32_e64 s[4:5], s33, v183
	.loc	1 38 45                         ; attention_fwd.py:38:45
	v_cmp_lt_i32_e64 s[48:49], v64, v183
	.loc	1 38 66 is_stmt 0               ; attention_fwd.py:38:66
	v_cndmask_b32_e64 v44, v44, v116, s[14:15]
	v_cndmask_b32_e64 v45, v45, v116, s[12:13]
	s_or_b64 s[12:13], s[50:51], s[58:59]
	s_or_b64 s[6:7], s[90:91], s[6:7]
.Ltmp43:
	.loc	2 170 27 is_stmt 1              ; standard.py:170:27 @[ standard.py:191:40 @[ attention_fwd.py:39:42 ] ]
	v_max3_f32 v105, v105, v42, v43
.Ltmp44:
	.loc	1 35 38                         ; attention_fwd.py:35:38
	v_mul_f32_e32 v48, s10, v48
	v_mul_f32_e32 v49, s10, v49
	.loc	1 38 66                         ; attention_fwd.py:38:66
	v_cndmask_b32_e64 v46, v46, v116, s[12:13]
	v_cndmask_b32_e64 v47, v47, v116, s[6:7]
	s_or_b64 s[4:5], s[48:49], s[4:5]
	s_or_b64 vcc, s[60:61], vcc
.Ltmp45:
	.loc	2 170 27                        ; standard.py:170:27 @[ standard.py:191:40 @[ attention_fwd.py:39:42 ] ]
	v_max3_f32 v105, v105, v44, v45
.Ltmp46:
	.loc	1 38 66                         ; attention_fwd.py:38:66
	v_cndmask_b32_e64 v48, v48, v116, s[4:5]
	v_cndmask_b32_e32 v49, v49, v116, vcc
.Ltmp47:
	.loc	2 170 27                        ; standard.py:170:27 @[ standard.py:191:40 @[ attention_fwd.py:39:42 ] ]
	v_max3_f32 v105, v105, v46, v47
	v_max3_f32 v105, v105, v48, v49
.Ltmp48:
	.loc	2 191 40                        ; standard.py:191:40 @[ attention_fwd.py:39:42 ]
	v_mov_b32_e32 v120, v105
	s_nop 1
	v_permlane32_swap_b32_e32 v105, v120
.Ltmp49:
	.loc	1 39 31                         ; attention_fwd.py:39:31
	v_max3_f32 v105, v121, v105, v120
	.loc	1 40 24                         ; attention_fwd.py:40:24
	v_sub_f32_e32 v18, v18, v105
	v_sub_f32_e32 v120, v21, v105
	.loc	1 40 19 is_stmt 0               ; attention_fwd.py:40:19
	v_mul_f32_e32 v21, 0x3fb8aa3b, v18
	v_cmp_gt_f32_e32 vcc, s96, v21
	.loc	1 40 24                         ; attention_fwd.py:40:24
	v_sub_f32_e32 v19, v19, v105
	v_sub_f32_e32 v122, v22, v105
	.loc	1 40 19                         ; attention_fwd.py:40:19
	v_cndmask_b32_e32 v21, 0, v117, vcc
	v_fmac_f32_e32 v21, 0x3fb8aa3b, v18
	v_exp_f32_e32 v18, v21
	v_cndmask_b32_e32 v21, 0, v118, vcc
	.loc	1 40 24                         ; attention_fwd.py:40:24
	v_sub_f32_e32 v20, v20, v105
	v_sub_f32_e32 v124, v26, v105
	.loc	1 40 19                         ; attention_fwd.py:40:19
	v_ldexp_f32 v22, v18, v21
	v_mul_f32_e32 v18, 0x3fb8aa3b, v19
	v_cmp_gt_f32_e32 vcc, s96, v18
	.loc	1 40 24                         ; attention_fwd.py:40:24
	v_sub_f32_e32 v23, v23, v105
	v_sub_f32_e32 v123, v25, v105
	.loc	1 40 19                         ; attention_fwd.py:40:19
	v_cndmask_b32_e32 v18, 0, v117, vcc
	v_fmac_f32_e32 v18, 0x3fb8aa3b, v19
	v_mul_f32_e32 v19, 0x3fb8aa3b, v20
	v_cmp_gt_f32_e64 s[4:5], s96, v19
	v_exp_f32_e32 v18, v18
	.loc	1 40 24                         ; attention_fwd.py:40:24
	v_sub_f32_e32 v24, v24, v105
	.loc	1 40 19                         ; attention_fwd.py:40:19
	v_cndmask_b32_e64 v19, 0, v117, s[4:5]
	v_fmac_f32_e32 v19, 0x3fb8aa3b, v20
	v_exp_f32_e32 v19, v19
	v_cndmask_b32_e32 v20, 0, v118, vcc
	v_ldexp_f32 v26, v18, v20
	v_cndmask_b32_e64 v18, 0, v118, s[4:5]
	v_ldexp_f32 v21, v19, v18
	v_mul_f32_e32 v18, 0x3fb8aa3b, v120
	v_cmp_gt_f32_e32 vcc, s96, v18
	v_mul_f32_e32 v19, 0x3fb8aa3b, v122
	v_cmp_gt_f32_e64 s[4:5], s96, v19
	v_cndmask_b32_e32 v18, 0, v117, vcc
	v_fmac_f32_e32 v18, 0x3fb8aa3b, v120
	v_cndmask_b32_e64 v19, 0, v117, s[4:5]
	v_exp_f32_e32 v18, v18
	v_fmac_f32_e32 v19, 0x3fb8aa3b, v122
	v_exp_f32_e32 v19, v19
	v_cndmask_b32_e32 v20, 0, v118, vcc
	v_ldexp_f32 v25, v18, v20
	v_cndmask_b32_e64 v18, 0, v118, s[4:5]
	v_ldexp_f32 v20, v19, v18
	v_mul_f32_e32 v18, 0x3fb8aa3b, v23
	v_cmp_gt_f32_e32 vcc, s96, v18
	v_mul_f32_e32 v19, 0x3fb8aa3b, v24
	v_cmp_gt_f32_e64 s[4:5], s96, v19
	v_cndmask_b32_e32 v18, 0, v117, vcc
	v_fmac_f32_e32 v18, 0x3fb8aa3b, v23
	v_cndmask_b32_e64 v19, 0, v117, s[4:5]
	v_exp_f32_e32 v18, v18
	;; [unrolled: 14-line block ×3, first 2 shown]
	v_fmac_f32_e32 v23, 0x3fb8aa3b, v124
	.loc	1 40 24                         ; attention_fwd.py:40:24
	v_sub_f32_e32 v157, v29, v105
	.loc	1 40 19                         ; attention_fwd.py:40:19
	v_exp_f32_e32 v29, v23
	v_cndmask_b32_e32 v23, 0, v118, vcc
	.loc	1 40 24                         ; attention_fwd.py:40:24
	v_sub_f32_e32 v27, v27, v105
	.loc	1 40 19                         ; attention_fwd.py:40:19
	v_ldexp_f32 v23, v18, v23
	v_cndmask_b32_e64 v18, 0, v118, s[4:5]
	.loc	1 40 24                         ; attention_fwd.py:40:24
	v_sub_f32_e32 v158, v30, v105
	.loc	1 40 19                         ; attention_fwd.py:40:19
	v_ldexp_f32 v30, v29, v18
	v_mul_f32_e32 v18, 0x3fb8aa3b, v27
	v_cmp_gt_f32_e32 vcc, s96, v18
	.loc	1 40 24                         ; attention_fwd.py:40:24
	v_sub_f32_e32 v28, v28, v105
	v_sub_f32_e32 v160, v34, v105
	.loc	1 40 19                         ; attention_fwd.py:40:19
	v_cndmask_b32_e32 v18, 0, v117, vcc
	v_fmac_f32_e32 v18, 0x3fb8aa3b, v27
	v_mul_f32_e32 v27, 0x3fb8aa3b, v28
	v_cmp_gt_f32_e64 s[4:5], s96, v27
	v_exp_f32_e32 v18, v18
	.loc	1 40 24                         ; attention_fwd.py:40:24
	v_sub_f32_e32 v31, v31, v105
	.loc	1 40 19                         ; attention_fwd.py:40:19
	v_cndmask_b32_e64 v27, 0, v117, s[4:5]
	v_fmac_f32_e32 v27, 0x3fb8aa3b, v28
	v_exp_f32_e32 v27, v27
	v_cndmask_b32_e32 v28, 0, v118, vcc
	v_ldexp_f32 v34, v18, v28
	v_cndmask_b32_e64 v18, 0, v118, s[4:5]
	v_ldexp_f32 v29, v27, v18
	v_mul_f32_e32 v18, 0x3fb8aa3b, v157
	v_cmp_gt_f32_e32 vcc, s96, v18
	v_mul_f32_e32 v27, 0x3fb8aa3b, v158
	v_cmp_gt_f32_e64 s[4:5], s96, v27
	v_cndmask_b32_e32 v18, 0, v117, vcc
	v_fmac_f32_e32 v18, 0x3fb8aa3b, v157
	v_cndmask_b32_e64 v27, 0, v117, s[4:5]
	v_exp_f32_e32 v18, v18
	v_fmac_f32_e32 v27, 0x3fb8aa3b, v158
	v_exp_f32_e32 v27, v27
	v_cndmask_b32_e32 v28, 0, v118, vcc
	.loc	1 40 24                         ; attention_fwd.py:40:24
	v_sub_f32_e32 v159, v33, v105
	.loc	1 40 19                         ; attention_fwd.py:40:19
	v_ldexp_f32 v33, v18, v28
	v_cndmask_b32_e64 v18, 0, v118, s[4:5]
	.loc	1 40 24                         ; attention_fwd.py:40:24
	v_sub_f32_e32 v32, v32, v105
	.loc	1 40 19                         ; attention_fwd.py:40:19
	v_ldexp_f32 v28, v27, v18
	v_mul_f32_e32 v18, 0x3fb8aa3b, v31
	v_cmp_gt_f32_e32 vcc, s96, v18
	v_mul_f32_e32 v27, 0x3fb8aa3b, v32
	v_cmp_gt_f32_e64 s[4:5], s96, v27
	v_cndmask_b32_e32 v18, 0, v117, vcc
	v_fmac_f32_e32 v18, 0x3fb8aa3b, v31
	v_cndmask_b32_e64 v27, 0, v117, s[4:5]
	v_exp_f32_e32 v18, v18
	v_fmac_f32_e32 v27, 0x3fb8aa3b, v32
	v_exp_f32_e32 v27, v27
	v_cndmask_b32_e32 v31, 0, v118, vcc
	v_ldexp_f32 v32, v18, v31
	v_cndmask_b32_e64 v18, 0, v118, s[4:5]
	v_ldexp_f32 v27, v27, v18
	v_mul_f32_e32 v18, 0x3fb8aa3b, v159
	v_cmp_gt_f32_e32 vcc, s96, v18
	v_mul_f32_e32 v31, 0x3fb8aa3b, v160
	v_cmp_gt_f32_e64 s[4:5], s96, v31
	v_cndmask_b32_e32 v18, 0, v117, vcc
	v_fmac_f32_e32 v18, 0x3fb8aa3b, v159
	v_cndmask_b32_e64 v31, 0, v117, s[4:5]
	v_exp_f32_e32 v18, v18
	v_fmac_f32_e32 v31, 0x3fb8aa3b, v160
	.loc	1 40 24                         ; attention_fwd.py:40:24
	v_sub_f32_e32 v161, v38, v105
	.loc	1 40 19                         ; attention_fwd.py:40:19
	v_exp_f32_e32 v38, v31
	v_cndmask_b32_e32 v31, 0, v118, vcc
	.loc	1 40 24                         ; attention_fwd.py:40:24
	v_sub_f32_e32 v35, v35, v105
	.loc	1 40 19                         ; attention_fwd.py:40:19
	v_ldexp_f32 v31, v18, v31
	v_cndmask_b32_e64 v18, 0, v118, s[4:5]
	.loc	1 40 24                         ; attention_fwd.py:40:24
	v_sub_f32_e32 v162, v39, v105
	.loc	1 40 19                         ; attention_fwd.py:40:19
	v_ldexp_f32 v39, v38, v18
	v_mul_f32_e32 v18, 0x3fb8aa3b, v35
	v_cmp_gt_f32_e32 vcc, s96, v18
	.loc	1 40 24                         ; attention_fwd.py:40:24
	v_sub_f32_e32 v36, v36, v105
	v_sub_f32_e32 v37, v37, v105
	.loc	1 40 19                         ; attention_fwd.py:40:19
	v_cndmask_b32_e32 v18, 0, v117, vcc
	v_fmac_f32_e32 v18, 0x3fb8aa3b, v35
	v_mul_f32_e32 v35, 0x3fb8aa3b, v36
	v_cmp_gt_f32_e64 s[4:5], s96, v35
	v_exp_f32_e32 v18, v18
	.loc	1 40 24                         ; attention_fwd.py:40:24
	v_sub_f32_e32 v165, v45, v105
	.loc	1 40 19                         ; attention_fwd.py:40:19
	v_cndmask_b32_e64 v35, 0, v117, s[4:5]
	v_fmac_f32_e32 v35, 0x3fb8aa3b, v36
	v_exp_f32_e32 v35, v35
	v_cndmask_b32_e32 v36, 0, v118, vcc
	v_ldexp_f32 v45, v18, v36
	v_cndmask_b32_e64 v18, 0, v118, s[4:5]
	v_ldexp_f32 v38, v35, v18
	v_mul_f32_e32 v18, 0x3fb8aa3b, v37
	v_cmp_gt_f32_e32 vcc, s96, v18
	v_mul_f32_e32 v35, 0x3fb8aa3b, v161
	v_cmp_gt_f32_e64 s[4:5], s96, v35
	v_cndmask_b32_e32 v18, 0, v117, vcc
	v_fmac_f32_e32 v18, 0x3fb8aa3b, v37
	v_cndmask_b32_e64 v35, 0, v117, s[4:5]
	v_exp_f32_e32 v18, v18
	v_fmac_f32_e32 v35, 0x3fb8aa3b, v161
	v_exp_f32_e32 v35, v35
	v_cndmask_b32_e32 v36, 0, v118, vcc
	.loc	1 40 24                         ; attention_fwd.py:40:24
	v_sub_f32_e32 v164, v42, v105
	.loc	1 40 19                         ; attention_fwd.py:40:19
	v_ldexp_f32 v42, v18, v36
	v_cndmask_b32_e64 v18, 0, v118, s[4:5]
	.loc	1 40 24                         ; attention_fwd.py:40:24
	v_sub_f32_e32 v40, v40, v105
	.loc	1 40 19                         ; attention_fwd.py:40:19
	v_ldexp_f32 v37, v35, v18
	v_mul_f32_e32 v18, 0x3fb8aa3b, v162
	v_cmp_gt_f32_e32 vcc, s96, v18
	v_mul_f32_e32 v35, 0x3fb8aa3b, v40
	v_cmp_gt_f32_e64 s[4:5], s96, v35
	v_cndmask_b32_e32 v18, 0, v117, vcc
	v_fmac_f32_e32 v18, 0x3fb8aa3b, v162
	v_cndmask_b32_e64 v35, 0, v117, s[4:5]
	v_exp_f32_e32 v18, v18
	v_fmac_f32_e32 v35, 0x3fb8aa3b, v40
	v_exp_f32_e32 v35, v35
	v_cndmask_b32_e32 v36, 0, v118, vcc
	.loc	1 40 24                         ; attention_fwd.py:40:24
	v_sub_f32_e32 v163, v41, v105
	.loc	1 40 19                         ; attention_fwd.py:40:19
	v_ldexp_f32 v41, v18, v36
	v_cndmask_b32_e64 v18, 0, v118, s[4:5]
	v_ldexp_f32 v36, v35, v18
	v_mul_f32_e32 v18, 0x3fb8aa3b, v163
	v_cmp_gt_f32_e32 vcc, s96, v18
	v_mul_f32_e32 v35, 0x3fb8aa3b, v164
	v_cmp_gt_f32_e64 s[4:5], s96, v35
	v_cndmask_b32_e32 v18, 0, v117, vcc
	v_fmac_f32_e32 v18, 0x3fb8aa3b, v163
	v_cndmask_b32_e64 v35, 0, v117, s[4:5]
	v_exp_f32_e32 v18, v18
	v_fmac_f32_e32 v35, 0x3fb8aa3b, v164
	v_exp_f32_e32 v35, v35
	v_cndmask_b32_e32 v40, 0, v118, vcc
	.loc	1 40 24                         ; attention_fwd.py:40:24
	v_sub_f32_e32 v43, v43, v105
	.loc	1 40 19                         ; attention_fwd.py:40:19
	v_ldexp_f32 v40, v18, v40
	v_cndmask_b32_e64 v18, 0, v118, s[4:5]
	.loc	1 40 24                         ; attention_fwd.py:40:24
	v_sub_f32_e32 v44, v44, v105
	v_sub_f32_e32 v168, v49, v105
	.loc	1 40 19                         ; attention_fwd.py:40:19
	v_ldexp_f32 v49, v35, v18
	v_mul_f32_e32 v18, 0x3fb8aa3b, v43
	v_cmp_gt_f32_e32 vcc, s96, v18
	v_mul_f32_e32 v35, 0x3fb8aa3b, v44
	v_cmp_gt_f32_e64 s[4:5], s96, v35
	v_cndmask_b32_e32 v18, 0, v117, vcc
	v_fmac_f32_e32 v18, 0x3fb8aa3b, v43
	v_cndmask_b32_e64 v35, 0, v117, s[4:5]
	v_exp_f32_e32 v18, v18
	v_fmac_f32_e32 v35, 0x3fb8aa3b, v44
	v_exp_f32_e32 v35, v35
	v_cndmask_b32_e32 v43, 0, v118, vcc
	v_ldexp_f32 v124, v18, v43
	v_cndmask_b32_e64 v18, 0, v118, s[4:5]
	.loc	1 40 24                         ; attention_fwd.py:40:24
	v_sub_f32_e32 v46, v46, v105
	v_sub_f32_e32 v167, v48, v105
	.loc	1 40 19                         ; attention_fwd.py:40:19
	v_ldexp_f32 v48, v35, v18
	v_mul_f32_e32 v18, 0x3fb8aa3b, v165
	v_cmp_gt_f32_e32 vcc, s96, v18
	v_mul_f32_e32 v35, 0x3fb8aa3b, v46
	v_cmp_gt_f32_e64 s[4:5], s96, v35
	v_cndmask_b32_e32 v18, 0, v117, vcc
	v_fmac_f32_e32 v18, 0x3fb8aa3b, v165
	v_cndmask_b32_e64 v35, 0, v117, s[4:5]
	v_exp_f32_e32 v18, v18
	v_fmac_f32_e32 v35, 0x3fb8aa3b, v46
	v_exp_f32_e32 v35, v35
	v_cndmask_b32_e32 v43, 0, v118, vcc
	.loc	1 40 24                         ; attention_fwd.py:40:24
	v_sub_f32_e32 v166, v47, v105
	.loc	1 40 19                         ; attention_fwd.py:40:19
	v_ldexp_f32 v123, v18, v43
	v_cndmask_b32_e64 v18, 0, v118, s[4:5]
	v_ldexp_f32 v47, v35, v18
	v_mul_f32_e32 v18, 0x3fb8aa3b, v166
	v_cmp_gt_f32_e32 vcc, s96, v18
	v_mul_f32_e32 v35, 0x3fb8aa3b, v167
	v_cmp_gt_f32_e64 s[4:5], s96, v35
	v_cndmask_b32_e32 v18, 0, v117, vcc
	v_fmac_f32_e32 v18, 0x3fb8aa3b, v166
	v_cndmask_b32_e64 v35, 0, v117, s[4:5]
	v_exp_f32_e32 v18, v18
	v_fmac_f32_e32 v35, 0x3fb8aa3b, v167
	v_exp_f32_e32 v35, v35
	v_cndmask_b32_e32 v43, 0, v118, vcc
	v_ldexp_f32 v122, v18, v43
	v_cndmask_b32_e64 v18, 0, v118, s[4:5]
	v_ldexp_f32 v46, v35, v18
	v_mul_f32_e32 v18, 0x3fb8aa3b, v168
	.loc	1 41 29 is_stmt 1               ; attention_fwd.py:41:29
	v_sub_f32_e32 v35, v121, v105
	.loc	1 40 19                         ; attention_fwd.py:40:19
	v_cmp_gt_f32_e32 vcc, s96, v18
	.loc	1 41 23                         ; attention_fwd.py:41:23
	v_mul_f32_e32 v43, 0x3fb8aa3b, v35
	v_cmp_gt_f32_e64 s[4:5], s96, v43
	.loc	1 40 19                         ; attention_fwd.py:40:19
	v_cndmask_b32_e32 v18, 0, v117, vcc
	v_fmac_f32_e32 v18, 0x3fb8aa3b, v168
	.loc	1 41 23                         ; attention_fwd.py:41:23
	v_cndmask_b32_e64 v43, 0, v117, s[4:5]
	.loc	1 40 19                         ; attention_fwd.py:40:19
	v_exp_f32_e32 v18, v18
	.loc	1 41 23                         ; attention_fwd.py:41:23
	v_fmac_f32_e32 v43, 0x3fb8aa3b, v35
	v_exp_f32_e32 v35, v43
	.loc	1 40 19                         ; attention_fwd.py:40:19
	v_cndmask_b32_e32 v43, 0, v118, vcc
	v_ldexp_f32 v120, v18, v43
	.loc	1 41 23                         ; attention_fwd.py:41:23
	v_cndmask_b32_e64 v18, 0, v118, s[4:5]
	v_ldexp_f32 v35, v35, v18
.Ltmp50:
	.loc	2 263 15                        ; standard.py:263:15 @[ standard.py:293:36 @[ attention_fwd.py:42:38 ] ]
	v_add_f32_e32 v18, v22, v26
	v_add_f32_e32 v18, v21, v18
	;; [unrolled: 1-line block ×31, first 2 shown]
.Ltmp51:
	.loc	1 43 20                         ; attention_fwd.py:43:20
	ds_write_b32 v106, v35 offset:16384
	s_waitcnt lgkmcnt(0)
	s_barrier
	ds_read_b32 v18, v107 offset:16384
	.loc	1 45 20                         ; attention_fwd.py:45:20
	v_readlane_b32 s4, v197, 3
.Ltmp52:
	.loc	2 293 36                        ; standard.py:293:36 @[ attention_fwd.py:42:38 ]
	v_mov_b32_e32 v44, v43
.Ltmp53:
	.loc	1 45 20                         ; attention_fwd.py:45:20
	v_readlane_b32 s5, v197, 4
	s_andn2_b64 vcc, exec, s[4:5]
.Ltmp54:
	.loc	2 293 36                        ; standard.py:293:36 @[ attention_fwd.py:42:38 ]
	v_permlane32_swap_b32_e32 v43, v44
.Ltmp55:
	.loc	1 45 20                         ; attention_fwd.py:45:20
	s_cbranch_vccnz .LBB0_265
; %bb.264:                              ;   in Loop: Header=BB0_215 Depth=1
	.loc	1 0 20 is_stmt 0                ; attention_fwd.py:0:20
	v_readlane_b32 s4, v196, 6
	s_add_i32 s4, s4, s98
	s_ashr_i32 s5, s4, 31
	v_lshl_add_u64 v[158:159], s[4:5], 1, v[52:53]
	.loc	1 45 20                         ; attention_fwd.py:45:20
	global_load_ushort v121, v[158:159], off
	s_branch .LBB0_266
.LBB0_265:                              ;   in Loop: Header=BB0_215 Depth=1
	.loc	1 0 20                          ; attention_fwd.py:0:20
	v_mov_b32_e32 v121, 0
.LBB0_266:                              ;   in Loop: Header=BB0_215 Depth=1
	.loc	1 45 20 is_stmt 1               ; attention_fwd.py:45:20
	v_readlane_b32 s4, v197, 6
	v_readlane_b32 s5, v197, 7
	;; [unrolled: 1-line block ×3, first 2 shown]
	s_andn2_b64 vcc, exec, s[4:5]
	s_cbranch_vccnz .LBB0_268
; %bb.267:                              ;   in Loop: Header=BB0_215 Depth=1
	.loc	1 44 39                         ; attention_fwd.py:44:39
	v_readlane_b32 s4, v196, 4
	s_add_i32 s4, s4, s98
	.loc	1 44 21 is_stmt 0               ; attention_fwd.py:44:21
	s_ashr_i32 s5, s4, 31
	.loc	1 44 51                         ; attention_fwd.py:44:51
	v_lshl_add_u64 v[158:159], s[4:5], 1, v[52:53]
	.loc	1 45 20 is_stmt 1               ; attention_fwd.py:45:20
	global_load_ushort v157, v[158:159], off
	s_branch .LBB0_269
.LBB0_268:                              ;   in Loop: Header=BB0_215 Depth=1
	.loc	1 0 20 is_stmt 0                ; attention_fwd.py:0:20
	v_mov_b32_e32 v157, 0
.LBB0_269:                              ;   in Loop: Header=BB0_215 Depth=1
	.loc	1 45 20 is_stmt 1               ; attention_fwd.py:45:20
	v_readlane_b32 s4, v197, 8
	v_readlane_b32 s5, v197, 9
	s_andn2_b64 vcc, exec, s[4:5]
	s_cbranch_vccnz .LBB0_271
; %bb.270:                              ;   in Loop: Header=BB0_215 Depth=1
	.loc	1 44 39                         ; attention_fwd.py:44:39
	v_readlane_b32 s4, v196, 2
	s_add_i32 s4, s4, s98
	.loc	1 44 21 is_stmt 0               ; attention_fwd.py:44:21
	s_ashr_i32 s5, s4, 31
	.loc	1 44 51                         ; attention_fwd.py:44:51
	v_lshl_add_u64 v[158:159], s[4:5], 1, v[52:53]
	.loc	1 45 20 is_stmt 1               ; attention_fwd.py:45:20
	global_load_ushort v158, v[158:159], off
	s_branch .LBB0_272
.LBB0_271:                              ;   in Loop: Header=BB0_215 Depth=1
	.loc	1 0 20 is_stmt 0                ; attention_fwd.py:0:20
	v_mov_b32_e32 v158, 0
.LBB0_272:                              ;   in Loop: Header=BB0_215 Depth=1
	.loc	1 45 20 is_stmt 1               ; attention_fwd.py:45:20
	v_readlane_b32 s4, v197, 16
	v_readlane_b32 s5, v197, 17
	;; [unrolled: 20-line block ×9, first 2 shown]
	s_andn2_b64 vcc, exec, s[4:5]
	s_cbranch_vccnz .LBB0_299
; %bb.294:                              ;   in Loop: Header=BB0_215 Depth=1
	.loc	1 44 39                         ; attention_fwd.py:44:39
	v_readlane_b32 s4, v197, 50
	s_add_i32 s4, s4, s98
	.loc	1 44 21 is_stmt 0               ; attention_fwd.py:44:21
	s_ashr_i32 s5, s4, 31
	.loc	1 44 51                         ; attention_fwd.py:44:51
	v_lshl_add_u64 v[166:167], s[4:5], 1, v[52:53]
	.loc	1 45 20 is_stmt 1               ; attention_fwd.py:45:20
	global_load_ushort v166, v[166:167], off
	s_andn2_b64 vcc, exec, s[2:3]
	s_cbranch_vccnz .LBB0_300
.LBB0_295:                              ;   in Loop: Header=BB0_215 Depth=1
	.loc	1 44 39                         ; attention_fwd.py:44:39
	v_readlane_b32 s2, v197, 48
	s_add_i32 s2, s2, s98
	.loc	1 44 21 is_stmt 0               ; attention_fwd.py:44:21
	s_ashr_i32 s3, s2, 31
	.loc	1 44 51                         ; attention_fwd.py:44:51
	v_lshl_add_u64 v[168:169], s[2:3], 1, v[52:53]
	.loc	1 45 20 is_stmt 1               ; attention_fwd.py:45:20
	global_load_ushort v167, v[168:169], off
	s_andn2_b64 vcc, exec, s[8:9]
	s_cbranch_vccnz .LBB0_301
.LBB0_296:                              ;   in Loop: Header=BB0_215 Depth=1
	.loc	1 44 39                         ; attention_fwd.py:44:39
	v_readlane_b32 s2, v197, 46
	s_add_i32 s2, s2, s98
	.loc	1 44 21 is_stmt 0               ; attention_fwd.py:44:21
	s_ashr_i32 s3, s2, 31
	.loc	1 44 51                         ; attention_fwd.py:44:51
	v_lshl_add_u64 v[168:169], s[2:3], 1, v[52:53]
	.loc	1 45 20 is_stmt 1               ; attention_fwd.py:45:20
	global_load_ushort v168, v[168:169], off
	s_andn2_b64 vcc, exec, s[92:93]
	s_cbranch_vccnz .LBB0_302
.LBB0_297:                              ;   in Loop: Header=BB0_215 Depth=1
	.loc	1 44 39                         ; attention_fwd.py:44:39
	v_readlane_b32 s2, v197, 5
	s_add_i32 s2, s2, s98
	.loc	1 44 21 is_stmt 0               ; attention_fwd.py:44:21
	s_ashr_i32 s3, s2, 31
	.loc	1 44 51                         ; attention_fwd.py:44:51
	v_lshl_add_u64 v[170:171], s[2:3], 1, v[52:53]
	.loc	1 45 20 is_stmt 1               ; attention_fwd.py:45:20
	global_load_ushort v169, v[170:171], off
	s_andn2_b64 vcc, exec, s[0:1]
	s_cbranch_vccnz .LBB0_303
.LBB0_298:                              ;   in Loop: Header=BB0_215 Depth=1
	.loc	1 44 39                         ; attention_fwd.py:44:39
	v_readlane_b32 s0, v197, 41
	s_add_i32 s0, s0, s98
	.loc	1 44 21 is_stmt 0               ; attention_fwd.py:44:21
	s_ashr_i32 s1, s0, 31
	.loc	1 44 51                         ; attention_fwd.py:44:51
	v_lshl_add_u64 v[170:171], s[0:1], 1, v[52:53]
	.loc	1 45 20 is_stmt 1               ; attention_fwd.py:45:20
	global_load_ushort v170, v[170:171], off
	s_andn2_b64 vcc, exec, s[94:95]
	s_cbranch_vccz .LBB0_213
	s_branch .LBB0_304
.LBB0_299:                              ;   in Loop: Header=BB0_215 Depth=1
	.loc	1 0 20 is_stmt 0                ; attention_fwd.py:0:20
	v_mov_b32_e32 v166, 0
	.loc	1 45 20                         ; attention_fwd.py:45:20
	s_andn2_b64 vcc, exec, s[2:3]
	s_cbranch_vccz .LBB0_295
.LBB0_300:                              ;   in Loop: Header=BB0_215 Depth=1
	.loc	1 0 20                          ; attention_fwd.py:0:20
	v_mov_b32_e32 v167, 0
	.loc	1 45 20                         ; attention_fwd.py:45:20
	s_andn2_b64 vcc, exec, s[8:9]
	s_cbranch_vccz .LBB0_296
.LBB0_301:                              ;   in Loop: Header=BB0_215 Depth=1
	.loc	1 0 20                          ; attention_fwd.py:0:20
	v_mov_b32_e32 v168, 0
	.loc	1 45 20                         ; attention_fwd.py:45:20
	s_andn2_b64 vcc, exec, s[92:93]
	s_cbranch_vccz .LBB0_297
.LBB0_302:                              ;   in Loop: Header=BB0_215 Depth=1
	.loc	1 0 20                          ; attention_fwd.py:0:20
	v_mov_b32_e32 v169, 0
	.loc	1 45 20                         ; attention_fwd.py:45:20
	s_andn2_b64 vcc, exec, s[0:1]
	s_cbranch_vccz .LBB0_298
.LBB0_303:                              ;   in Loop: Header=BB0_215 Depth=1
	.loc	1 0 20                          ; attention_fwd.py:0:20
	v_mov_b32_e32 v170, 0
	.loc	1 45 20                         ; attention_fwd.py:45:20
	s_andn2_b64 vcc, exec, s[94:95]
	s_cbranch_vccz .LBB0_213
.LBB0_304:                              ;   in Loop: Header=BB0_215 Depth=1
	.loc	1 0 20                          ; attention_fwd.py:0:20
	v_mov_b32_e32 v171, 0
	.loc	1 45 20                         ; attention_fwd.py:45:20
	s_branch .LBB0_214
.LBB0_305:                              ; %Flow
	.loc	1 0 20                          ; attention_fwd.py:0:20
	v_readlane_b32 s62, v197, 12
	v_readlane_b32 s92, v197, 14
	v_readlane_b32 s90, v197, 10
	v_readlane_b32 s91, v197, 11
	v_readlane_b32 s63, v197, 13
	v_readlane_b32 s93, v197, 15
.LBB0_306:                              ; %Flow477
	s_load_dwordx2 s[86:87], s[62:63], 0x3c
	.loc	1 31 32 is_stmt 1               ; attention_fwd.py:31:32
	s_add_i32 s0, s99, 0x7f
	s_cmp_gt_i32 s0, 63
	s_cselect_b64 s[88:89], -1, 0
	s_cmp_lt_i32 s0, 64
	.loc	1 35 23                         ; attention_fwd.py:35:23
	v_mov_b32_e32 v18, 0
	v_mov_b32_e32 v19, 0
	;; [unrolled: 1-line block ×32, first 2 shown]
	s_waitcnt lgkmcnt(0)
	s_barrier
	s_cbranch_scc1 .LBB0_308
; %bb.307:
	v_bitop3_b32 v34, v57, v59, v58 bitop3:0x36
	v_add_u32_e32 v35, 0, v34
	ds_read_b128 v[36:39], v35
	ds_read_b128 v[58:61], v35 offset:4096
	v_xad_u32 v50, v34, 32, 0
	v_xad_u32 v51, v34, 64, 0
	v_xor_b32_e32 v34, 0x60, v34
	v_add_u32_e32 v52, 0, v34
	s_waitcnt lgkmcnt(1)
	v_mfma_f32_32x32x16_f16 v[18:33], v[36:39], v[134:137], 0
	ds_read_b128 v[36:39], v50
	s_waitcnt lgkmcnt(0)
	v_mfma_f32_32x32x16_f16 v[18:33], v[36:39], v[126:129], v[18:33]
	ds_read_b128 v[36:39], v51
	;; [unrolled: 3-line block ×3, first 2 shown]
	s_waitcnt lgkmcnt(0)
	v_mfma_f32_32x32x16_f16 v[18:33], v[36:39], v[130:133], v[18:33]
	v_mfma_f32_32x32x16_f16 v[34:49], v[58:61], v[134:137], 0
	ds_read_b128 v[58:61], v50 offset:4096
	s_waitcnt lgkmcnt(0)
	v_mfma_f32_32x32x16_f16 v[34:49], v[58:61], v[126:129], v[34:49]
	ds_read_b128 v[58:61], v51 offset:4096
	ds_read_b128 v[50:53], v52 offset:4096
	s_waitcnt lgkmcnt(1)
	v_mfma_f32_32x32x16_f16 v[34:49], v[58:61], v[138:141], v[34:49]
	s_waitcnt lgkmcnt(0)
	v_mfma_f32_32x32x16_f16 v[34:49], v[50:53], v[130:133], v[34:49]
.LBB0_308:
	.loc	1 31 32                         ; attention_fwd.py:31:32
	s_ashr_i32 s1, s0, 31
	s_lshr_b32 s1, s1, 26
	s_add_i32 s0, s0, s1
	s_ashr_i32 s0, s0, 6
	s_max_i32 s0, s0, 1
	s_lshl_b32 s0, s0, 6
	s_sub_i32 s0, s0, 64
	.loc	1 32 27                         ; attention_fwd.py:32:27
	v_or_b32_e32 v50, s0, v65
	v_or_b32_e32 v51, s0, v66
	.loc	1 36 40                         ; attention_fwd.py:36:40
	v_cmp_le_i32_e64 s[56:57], s33, v50
	v_cmp_le_i32_e64 s[58:59], s33, v51
	.loc	1 38 45                         ; attention_fwd.py:38:45
	v_cmp_lt_i32_e64 s[68:69], v64, v50
	v_cmp_lt_i32_e64 s[70:71], v64, v51
	.loc	1 32 27                         ; attention_fwd.py:32:27
	v_or_b32_e32 v52, s0, v67
	v_or_b32_e32 v53, s0, v68
	;; [unrolled: 1-line block ×10, first 2 shown]
	.loc	1 35 38                         ; attention_fwd.py:35:38
	v_mul_f32_e32 v18, s10, v18
	v_mul_f32_e32 v19, s10, v19
	.loc	1 38 66                         ; attention_fwd.py:38:66
	v_mov_b32_e32 v50, 0xff800000
	s_or_b64 s[56:57], s[68:69], s[56:57]
	s_or_b64 s[58:59], s[70:71], s[58:59]
	.loc	1 36 40                         ; attention_fwd.py:36:40
	v_cmp_le_i32_e64 s[60:61], s33, v52
	v_cmp_le_i32_e64 s[62:63], s33, v53
	;; [unrolled: 1-line block ×10, first 2 shown]
	.loc	1 38 45                         ; attention_fwd.py:38:45
	v_cmp_lt_i32_e64 s[72:73], v64, v52
	v_cmp_lt_i32_e64 s[74:75], v64, v53
	;; [unrolled: 1-line block ×7, first 2 shown]
	.loc	1 38 66 is_stmt 0               ; attention_fwd.py:38:66
	v_cndmask_b32_e64 v18, v18, v50, s[56:57]
	.loc	1 38 45                         ; attention_fwd.py:38:45
	v_cmp_lt_i32_e64 s[56:57], v64, v62
	v_cmp_lt_i32_e64 s[68:69], v64, v63
	.loc	1 38 66                         ; attention_fwd.py:38:66
	v_cndmask_b32_e64 v19, v19, v50, s[58:59]
	.loc	1 38 45                         ; attention_fwd.py:38:45
	v_cmp_lt_i32_e64 s[58:59], v64, v65
	.loc	1 32 27 is_stmt 1               ; attention_fwd.py:32:27
	v_or_b32_e32 v66, s0, v77
	v_or_b32_e32 v67, s0, v78
	;; [unrolled: 1-line block ×20, first 2 shown]
	.loc	1 35 38                         ; attention_fwd.py:35:38
	v_mul_f32_e32 v20, s10, v20
	v_mul_f32_e32 v21, s10, v21
	;; [unrolled: 1-line block ×10, first 2 shown]
	.loc	1 38 66                         ; attention_fwd.py:38:66
	s_or_b64 s[60:61], s[72:73], s[60:61]
	s_or_b64 s[62:63], s[74:75], s[62:63]
	;; [unrolled: 1-line block ×10, first 2 shown]
	.loc	1 35 38                         ; attention_fwd.py:35:38
	v_mul_f32_e32 v30, s10, v30
	v_mul_f32_e32 v31, s10, v31
	;; [unrolled: 1-line block ×20, first 2 shown]
	.loc	1 36 40                         ; attention_fwd.py:36:40
	v_cmp_le_i32_e64 s[42:43], s33, v66
	v_cmp_le_i32_e64 s[40:41], s33, v67
	;; [unrolled: 1-line block ×19, first 2 shown]
	v_cmp_le_i32_e32 vcc, s33, v85
	.loc	1 38 45                         ; attention_fwd.py:38:45
	v_cmp_lt_i32_e64 s[70:71], v64, v66
	.loc	1 38 66 is_stmt 0               ; attention_fwd.py:38:66
	v_cndmask_b32_e64 v20, v20, v50, s[60:61]
	.loc	1 38 45                         ; attention_fwd.py:38:45
	v_cmp_lt_i32_e64 s[60:61], v64, v67
	v_cmp_lt_i32_e64 s[72:73], v64, v68
	.loc	1 38 66                         ; attention_fwd.py:38:66
	v_cndmask_b32_e64 v21, v21, v50, s[62:63]
	.loc	1 38 45                         ; attention_fwd.py:38:45
	v_cmp_lt_i32_e64 s[62:63], v64, v69
	v_cmp_lt_i32_e64 s[74:75], v64, v70
	.loc	1 38 66                         ; attention_fwd.py:38:66
	;; [unrolled: 5-line block ×9, first 2 shown]
	v_cndmask_b32_e64 v29, v29, v50, s[44:45]
	.loc	1 38 45                         ; attention_fwd.py:38:45
	v_cmp_lt_i32_e64 s[44:45], v64, v85
	.loc	1 38 66                         ; attention_fwd.py:38:66
	s_or_b64 s[42:43], s[70:71], s[42:43]
	s_or_b64 s[40:41], s[60:61], s[40:41]
	;; [unrolled: 1-line block ×19, first 2 shown]
	s_or_b64 vcc, s[44:45], vcc
	v_cndmask_b32_e64 v30, v30, v50, s[42:43]
	v_cndmask_b32_e64 v31, v31, v50, s[40:41]
	;; [unrolled: 1-line block ×19, first 2 shown]
	v_cndmask_b32_e32 v49, v49, v50, vcc
.Ltmp56:
	.loc	2 170 27 is_stmt 1              ; standard.py:170:27 @[ standard.py:191:40 @[ attention_fwd.py:39:42 ] ]
	v_max_f32_e32 v50, v18, v19
	v_max3_f32 v50, v50, v20, v21
	v_max3_f32 v50, v50, v22, v23
	;; [unrolled: 1-line block ×15, first 2 shown]
.Ltmp57:
	.loc	2 191 40                        ; standard.py:191:40 @[ attention_fwd.py:39:42 ]
	v_mov_b32_e32 v51, v50
	s_nop 1
	v_permlane32_swap_b32_e32 v50, v51
.Ltmp58:
	.loc	1 39 31                         ; attention_fwd.py:39:31
	v_max3_f32 v50, v105, v50, v51
	.loc	1 40 24                         ; attention_fwd.py:40:24
	v_sub_f32_e32 v18, v18, v50
	.loc	1 40 19 is_stmt 0               ; attention_fwd.py:40:19
	v_mul_f32_e32 v51, 0x3fb8aa3b, v18
	s_mov_b32 s2, 0xc2fc0000
	v_mov_b32_e32 v52, 0x42800000
	v_cmp_gt_f32_e32 vcc, s2, v51
	.loc	1 40 24                         ; attention_fwd.py:40:24
	v_sub_f32_e32 v19, v19, v50
	v_sub_f32_e32 v20, v20, v50
	.loc	1 40 19                         ; attention_fwd.py:40:19
	v_cndmask_b32_e32 v51, 0, v52, vcc
	v_fmac_f32_e32 v51, 0x3fb8aa3b, v18
	v_exp_f32_e32 v18, v51
	v_not_b32_e32 v51, 63
	v_cndmask_b32_e32 v53, 0, v51, vcc
	.loc	1 40 24                         ; attention_fwd.py:40:24
	v_sub_f32_e32 v21, v21, v50
	.loc	1 40 19                         ; attention_fwd.py:40:19
	v_ldexp_f32 v53, v18, v53
	v_mul_f32_e32 v18, 0x3fb8aa3b, v19
	v_cmp_gt_f32_e32 vcc, s2, v18
	.loc	1 40 24                         ; attention_fwd.py:40:24
	v_sub_f32_e32 v22, v22, v50
	v_sub_f32_e32 v23, v23, v50
	.loc	1 40 19                         ; attention_fwd.py:40:19
	v_cndmask_b32_e32 v18, 0, v52, vcc
	v_fmac_f32_e32 v18, 0x3fb8aa3b, v19
	v_mul_f32_e32 v19, 0x3fb8aa3b, v20
	v_cmp_gt_f32_e64 s[0:1], s2, v19
	v_exp_f32_e32 v18, v18
	.loc	1 40 24                         ; attention_fwd.py:40:24
	v_sub_f32_e32 v24, v24, v50
	.loc	1 40 19                         ; attention_fwd.py:40:19
	v_cndmask_b32_e64 v19, 0, v52, s[0:1]
	v_fmac_f32_e32 v19, 0x3fb8aa3b, v20
	v_exp_f32_e32 v19, v19
	v_cndmask_b32_e32 v20, 0, v51, vcc
	v_ldexp_f32 v57, v18, v20
	v_cndmask_b32_e64 v18, 0, v51, s[0:1]
	v_ldexp_f32 v58, v19, v18
	v_mul_f32_e32 v18, 0x3fb8aa3b, v21
	v_cmp_gt_f32_e32 vcc, s2, v18
	v_mul_f32_e32 v19, 0x3fb8aa3b, v22
	v_cmp_gt_f32_e64 s[0:1], s2, v19
	v_cndmask_b32_e32 v18, 0, v52, vcc
	v_fmac_f32_e32 v18, 0x3fb8aa3b, v21
	v_cndmask_b32_e64 v19, 0, v52, s[0:1]
	v_exp_f32_e32 v18, v18
	v_fmac_f32_e32 v19, 0x3fb8aa3b, v22
	v_exp_f32_e32 v19, v19
	v_cndmask_b32_e32 v20, 0, v51, vcc
	v_ldexp_f32 v59, v18, v20
	v_cndmask_b32_e64 v18, 0, v51, s[0:1]
	v_ldexp_f32 v60, v19, v18
	v_mul_f32_e32 v18, 0x3fb8aa3b, v23
	v_cmp_gt_f32_e32 vcc, s2, v18
	v_mul_f32_e32 v19, 0x3fb8aa3b, v24
	v_cmp_gt_f32_e64 s[0:1], s2, v19
	v_cndmask_b32_e32 v18, 0, v52, vcc
	v_fmac_f32_e32 v18, 0x3fb8aa3b, v23
	v_cndmask_b32_e64 v19, 0, v52, s[0:1]
	v_exp_f32_e32 v18, v18
	v_fmac_f32_e32 v19, 0x3fb8aa3b, v24
	v_exp_f32_e32 v19, v19
	v_cndmask_b32_e32 v20, 0, v51, vcc
	.loc	1 40 24                         ; attention_fwd.py:40:24
	v_sub_f32_e32 v25, v25, v50
	.loc	1 40 19                         ; attention_fwd.py:40:19
	v_ldexp_f32 v61, v18, v20
	v_cndmask_b32_e64 v18, 0, v51, s[0:1]
	.loc	1 40 24                         ; attention_fwd.py:40:24
	v_sub_f32_e32 v26, v26, v50
	.loc	1 40 19                         ; attention_fwd.py:40:19
	v_ldexp_f32 v62, v19, v18
	v_mul_f32_e32 v18, 0x3fb8aa3b, v25
	v_cmp_gt_f32_e32 vcc, s2, v18
	v_mul_f32_e32 v19, 0x3fb8aa3b, v26
	v_cmp_gt_f32_e64 s[0:1], s2, v19
	v_cndmask_b32_e32 v18, 0, v52, vcc
	v_fmac_f32_e32 v18, 0x3fb8aa3b, v25
	v_cndmask_b32_e64 v19, 0, v52, s[0:1]
	v_exp_f32_e32 v18, v18
	v_fmac_f32_e32 v19, 0x3fb8aa3b, v26
	v_exp_f32_e32 v19, v19
	v_cndmask_b32_e32 v20, 0, v51, vcc
	.loc	1 40 24                         ; attention_fwd.py:40:24
	v_sub_f32_e32 v27, v27, v50
	.loc	1 40 19                         ; attention_fwd.py:40:19
	v_ldexp_f32 v63, v18, v20
	v_cndmask_b32_e64 v18, 0, v51, s[0:1]
	.loc	1 40 24                         ; attention_fwd.py:40:24
	v_sub_f32_e32 v28, v28, v50
	.loc	1 40 19                         ; attention_fwd.py:40:19
	;; [unrolled: 20-line block ×12, first 2 shown]
	v_ldexp_f32 v46, v19, v18
	v_mul_f32_e32 v18, 0x3fb8aa3b, v47
	v_cmp_gt_f32_e32 vcc, s2, v18
	v_mul_f32_e32 v19, 0x3fb8aa3b, v48
	v_cmp_gt_f32_e64 s[0:1], s2, v19
	v_cndmask_b32_e32 v18, 0, v52, vcc
	v_fmac_f32_e32 v18, 0x3fb8aa3b, v47
	v_cndmask_b32_e64 v19, 0, v52, s[0:1]
	v_exp_f32_e32 v18, v18
	v_fmac_f32_e32 v19, 0x3fb8aa3b, v48
	v_exp_f32_e32 v19, v19
	v_cndmask_b32_e32 v20, 0, v51, vcc
	.loc	1 40 24                         ; attention_fwd.py:40:24
	v_sub_f32_e32 v49, v49, v50
	.loc	1 40 19                         ; attention_fwd.py:40:19
	v_ldexp_f32 v47, v18, v20
	v_cndmask_b32_e64 v18, 0, v51, s[0:1]
	v_ldexp_f32 v48, v19, v18
	v_mul_f32_e32 v18, 0x3fb8aa3b, v49
	.loc	1 41 29 is_stmt 1               ; attention_fwd.py:41:29
	v_sub_f32_e32 v19, v105, v50
	.loc	1 40 19                         ; attention_fwd.py:40:19
	v_cmp_gt_f32_e32 vcc, s2, v18
	.loc	1 41 23                         ; attention_fwd.py:41:23
	v_mul_f32_e32 v20, 0x3fb8aa3b, v19
	v_cmp_gt_f32_e64 s[0:1], s2, v20
	.loc	1 40 19                         ; attention_fwd.py:40:19
	v_cndmask_b32_e32 v18, 0, v52, vcc
	v_fmac_f32_e32 v18, 0x3fb8aa3b, v49
	.loc	1 41 23                         ; attention_fwd.py:41:23
	v_cndmask_b32_e64 v20, 0, v52, s[0:1]
	.loc	1 40 19                         ; attention_fwd.py:40:19
	v_exp_f32_e32 v18, v18
	.loc	1 41 23                         ; attention_fwd.py:41:23
	v_fmac_f32_e32 v20, 0x3fb8aa3b, v19
	v_exp_f32_e32 v19, v20
	.loc	1 40 19                         ; attention_fwd.py:40:19
	v_cndmask_b32_e32 v20, 0, v51, vcc
	v_ldexp_f32 v49, v18, v20
	.loc	1 41 23                         ; attention_fwd.py:41:23
	v_cndmask_b32_e64 v18, 0, v51, s[0:1]
	v_ldexp_f32 v21, v19, v18
.Ltmp59:
	.loc	2 263 15                        ; standard.py:263:15 @[ standard.py:293:36 @[ attention_fwd.py:42:38 ] ]
	v_add_f32_e32 v18, v53, v57
	v_add_f32_e32 v18, v58, v18
	;; [unrolled: 1-line block ×31, first 2 shown]
.Ltmp60:
	.loc	1 43 20                         ; attention_fwd.py:43:20
	v_lshlrev_b32_e32 v18, 2, v54
	.loc	1 45 20                         ; attention_fwd.py:45:20
	v_lshlrev_b32_e32 v24, 1, v0
	.loc	1 43 20                         ; attention_fwd.py:43:20
	v_lshl_or_b32 v19, s91, 1, v18
	v_or_b32_e32 v18, s90, v18
	.loc	1 45 20                         ; attention_fwd.py:45:20
	v_lshlrev_b32_e32 v50, 5, v0
	v_and_b32_e32 v51, 24, v56
	v_and_b32_e32 v52, 32, v24
	v_mov_b32_e32 v24, 0x210
	s_movk_i32 s0, 0x180
	.loc	1 43 20                         ; attention_fwd.py:43:20
	v_add_u32_e32 v20, 0, v18
	.loc	1 45 20                         ; attention_fwd.py:45:20
	v_and_b32_e32 v18, 0x48, v55
	v_cndmask_b32_e64 v55, v24, 0, s[92:93]
	v_and_or_b32 v24, v50, s0, v51
	.loc	1 46 27                         ; attention_fwd.py:46:27
	v_cvt_f16_f32_e32 v53, v53
	.loc	1 45 20                         ; attention_fwd.py:45:20
	v_bitop3_b32 v18, v18, v24, v55 bitop3:0x36
	.loc	1 46 27                         ; attention_fwd.py:46:27
	v_lshlrev_b32_e32 v56, 1, v54
	v_cvt_f16_f32_e32 v57, v57
	.loc	1 45 20                         ; attention_fwd.py:45:20
	v_or_b32_e32 v24, v18, v52
	.loc	1 46 27                         ; attention_fwd.py:46:27
	v_bitop3_b32 v56, s91, v55, v56 bitop3:0xf6
	v_cvt_f16_f32_e32 v64, v64
	.loc	1 43 20                         ; attention_fwd.py:43:20
	v_add_u32_e32 v19, 0, v19
	.loc	1 45 20                         ; attention_fwd.py:45:20
	v_add_u32_e32 v25, 0, v24
	v_xad_u32 v26, v24, 32, 0
	.loc	1 46 27                         ; attention_fwd.py:46:27
	v_add_u32_e32 v78, 0, v56
	v_cvt_f16_f32_e32 v65, v65
	.loc	1 43 20                         ; attention_fwd.py:43:20
	ds_write_b32 v19, v21 offset:16384
	s_waitcnt lgkmcnt(0)
	s_barrier
	ds_read_b32 v18, v20 offset:16384
	.loc	1 45 20                         ; attention_fwd.py:45:20
	ds_read_b64_tr_b16 v[36:37], v25 offset:8192
	ds_read_b64_tr_b16 v[32:33], v25 offset:10240
	;; [unrolled: 1-line block ×8, first 2 shown]
	.loc	1 46 27                         ; attention_fwd.py:46:27
	s_waitcnt lgkmcnt(0)
	s_barrier
	ds_write_b16 v78, v53 offset:16384
	ds_write_b16 v78, v57 offset:16512
	ds_write_b16 v78, v64 offset:18432
	ds_write_b16 v78, v65 offset:18560
	v_cvt_f16_f32_e32 v53, v72
	v_cvt_f16_f32_e32 v57, v73
	v_cvt_f16_f32_e32 v42, v42
	v_cvt_f16_f32_e32 v43, v43
	ds_write_b16 v78, v53 offset:20480
	ds_write_b16 v78, v57 offset:20608
	ds_write_b16 v78, v42 offset:22528
	ds_write_b16 v78, v43 offset:22656
	v_cvt_f16_f32_e32 v43, v58
	v_cvt_f16_f32_e32 v53, v59
	v_cvt_f16_f32_e32 v57, v66
	v_xad_u32 v42, v56, 8, 0
	v_cvt_f16_f32_e32 v58, v67
	ds_write_b16 v42, v43 offset:16640
	ds_write_b16 v42, v53 offset:16768
	ds_write_b16 v42, v57 offset:18688
	ds_write_b16 v42, v58 offset:18816
	v_cvt_f16_f32_e32 v43, v74
	v_cvt_f16_f32_e32 v53, v75
	v_cvt_f16_f32_e32 v44, v44
	v_cvt_f16_f32_e32 v45, v45
	ds_write_b16 v42, v43 offset:20736
	ds_write_b16 v42, v53 offset:20864
	ds_write_b16 v42, v44 offset:22784
	ds_write_b16 v42, v45 offset:22912
	v_cvt_f16_f32_e32 v43, v60
	v_cvt_f16_f32_e32 v44, v61
	v_cvt_f16_f32_e32 v45, v68
	v_xad_u32 v42, v56, 32, 0
	v_cvt_f16_f32_e32 v53, v69
	;; [unrolled: 17-line block ×3, first 2 shown]
	v_bfe_i32 v0, v0, 3, 1
	s_movk_i32 s1, 0x108
	ds_write_b16 v40, v42 offset:17664
	ds_write_b16 v40, v43 offset:17792
	;; [unrolled: 1-line block ×4, first 2 shown]
	v_cvt_f16_f32_e32 v42, v77
	v_bitop3_b32 v0, v0, v51, s1 bitop3:0x6c
	v_cvt_f16_f32_e32 v41, v41
	v_xor_b32_e32 v0, v0, v55
	s_movk_i32 s1, 0x80
	v_cvt_f16_f32_e32 v43, v48
	s_lshr_b32 s0, s90, 1
	v_and_or_b32 v0, v50, s1, v0
	v_cvt_f16_f32_e32 v44, v49
	v_or3_b32 v0, v0, s0, v52
	ds_write_b16 v40, v42 offset:21760
	ds_write_b16 v40, v41 offset:21888
	;; [unrolled: 1-line block ×4, first 2 shown]
	v_add_u32_e32 v40, 0, v0
	v_xad_u32 v0, v0, 32, 0
	s_waitcnt lgkmcnt(0)
	s_barrier
	ds_read_b64_tr_b16 v[56:57], v40 offset:16384
	ds_read_b64_tr_b16 v[48:49], v40 offset:18432
	;; [unrolled: 1-line block ×8, first 2 shown]
.Ltmp61:
	.loc	2 293 36                        ; standard.py:293:36 @[ attention_fwd.py:42:38 ]
	v_mov_b32_e32 v23, v22
.Ltmp62:
	.loc	1 46 37                         ; attention_fwd.py:46:37
	s_andn2_b64 vcc, exec, s[88:89]
.Ltmp63:
	.loc	2 293 36                        ; standard.py:293:36 @[ attention_fwd.py:42:38 ]
	s_nop 0
	v_permlane32_swap_b32_e32 v22, v23
.Ltmp64:
	.loc	1 46 37                         ; attention_fwd.py:46:37
	s_cbranch_vccnz .LBB0_310
; %bb.309:
	v_pk_mul_f32 v[16:17], v[16:17], v[18:19] op_sel_hi:[1,0]
	v_pk_mul_f32 v[14:15], v[14:15], v[18:19] op_sel_hi:[1,0]
	;; [unrolled: 1-line block ×8, first 2 shown]
.Ltmp65:
	.loc	2 263 15                        ; standard.py:263:15 @[ standard.py:293:36 @[ attention_fwd.py:42:38 ] ]
	v_add_f32_e32 v0, v22, v23
.Ltmp66:
	.loc	1 42 28                         ; attention_fwd.py:42:28
	v_fmac_f32_e32 v0, v120, v21
	.loc	1 46 37                         ; attention_fwd.py:46:37
	s_waitcnt lgkmcnt(3)
	v_mfma_f32_32x32x16_f16 v[2:17], v[36:39], v[56:59], v[2:17]
	v_mov_b32_e32 v120, v0
	s_waitcnt lgkmcnt(2)
	v_mfma_f32_32x32x16_f16 v[2:17], v[32:35], v[48:51], v[2:17]
	s_waitcnt lgkmcnt(1)
	v_mfma_f32_32x32x16_f16 v[2:17], v[28:31], v[44:47], v[2:17]
	;; [unrolled: 2-line block ×3, first 2 shown]
.LBB0_310:
	.loc	1 48 16                         ; attention_fwd.py:48:16
	ds_write_b32 v19, v120
	s_waitcnt lgkmcnt(0)
	s_barrier
	ds_read_b32 v18, v20
	.loc	1 17 46                         ; attention_fwd.py:17:46
	s_lshr_b32 s2, s90, 2
	.loc	1 17 33 is_stmt 0               ; attention_fwd.py:17:33
	v_or_b32_e32 v0, s2, v54
	v_or_b32_e32 v0, s99, v0
	.loc	1 48 16 is_stmt 1               ; attention_fwd.py:48:16
	s_waitcnt lgkmcnt(0)
	s_nop 3
	v_div_scale_f32 v19, s[0:1], v18, v18, v2
	v_rcp_f32_e32 v20, v19
	.loc	1 21 47                         ; attention_fwd.py:21:47
	v_cmp_gt_i32_e64 s[0:1], s33, v0
	.loc	1 48 16                         ; attention_fwd.py:48:16
	v_fma_f32 v21, -v19, v20, 1.0
	v_fmac_f32_e32 v20, v21, v20
	v_div_scale_f32 v21, vcc, v2, v18, v2
	v_mul_f32_e32 v22, v21, v20
	v_fma_f32 v23, -v19, v22, v21
	v_fmac_f32_e32 v22, v23, v20
	v_fma_f32 v19, -v19, v22, v21
	v_div_scale_f32 v21, s[2:3], v18, v18, v3
	v_rcp_f32_e32 v23, v21
	v_div_fmas_f32 v19, v19, v20, v22
	v_div_fixup_f32 v2, v19, v18, v2
	v_fma_f32 v19, -v21, v23, 1.0
	v_fmac_f32_e32 v23, v19, v23
	v_div_scale_f32 v19, vcc, v3, v18, v3
	v_mul_f32_e32 v20, v19, v23
	v_fma_f32 v22, -v21, v20, v19
	v_fmac_f32_e32 v20, v22, v23
	v_fma_f32 v19, -v21, v20, v19
	v_div_scale_f32 v21, s[2:3], v18, v18, v4
	v_rcp_f32_e32 v22, v21
	v_div_fmas_f32 v19, v19, v23, v20
	v_div_fixup_f32 v3, v19, v18, v3
	;; [unrolled: 11-line block ×6, first 2 shown]
	.loc	1 50 30                         ; attention_fwd.py:50:30
	v_cvt_pk_f16_f32 v7, v6, v7
	.loc	1 48 16                         ; attention_fwd.py:48:16
	v_fma_f32 v19, -v21, v22, 1.0
	v_fmac_f32_e32 v22, v19, v22
	v_div_scale_f32 v19, vcc, v8, v18, v8
	v_mul_f32_e32 v20, v19, v22
	v_fma_f32 v23, -v21, v20, v19
	v_fmac_f32_e32 v20, v23, v22
	v_fma_f32 v19, -v21, v20, v19
	v_div_scale_f32 v21, s[2:3], v18, v18, v9
	v_rcp_f32_e32 v23, v21
	v_div_fmas_f32 v19, v19, v22, v20
	v_div_fixup_f32 v19, v19, v18, v8
	v_fma_f32 v8, -v21, v23, 1.0
	v_fmac_f32_e32 v23, v8, v23
	v_div_scale_f32 v8, vcc, v9, v18, v9
	v_mul_f32_e32 v20, v8, v23
	v_fma_f32 v22, -v21, v20, v8
	v_fmac_f32_e32 v20, v22, v23
	v_fma_f32 v8, -v21, v20, v8
	v_div_scale_f32 v21, s[2:3], v18, v18, v10
	v_rcp_f32_e32 v22, v21
	v_div_fmas_f32 v8, v8, v23, v20
	v_div_fixup_f32 v20, v8, v18, v9
	.loc	1 50 30                         ; attention_fwd.py:50:30
	v_cvt_pk_f16_f32 v6, v19, v20
	.loc	1 48 16                         ; attention_fwd.py:48:16
	v_fma_f32 v8, -v21, v22, 1.0
	v_fmac_f32_e32 v22, v8, v22
	v_div_scale_f32 v8, vcc, v10, v18, v10
	v_mul_f32_e32 v9, v8, v22
	v_fma_f32 v23, -v21, v9, v8
	v_fmac_f32_e32 v9, v23, v22
	v_fma_f32 v8, -v21, v9, v8
	v_div_scale_f32 v21, s[2:3], v18, v18, v11
	v_rcp_f32_e32 v23, v21
	v_div_fmas_f32 v8, v8, v22, v9
	v_div_fixup_f32 v10, v8, v18, v10
	v_fma_f32 v8, -v21, v23, 1.0
	v_fmac_f32_e32 v23, v8, v23
	v_div_scale_f32 v8, vcc, v11, v18, v11
	v_mul_f32_e32 v9, v8, v23
	v_fma_f32 v22, -v21, v9, v8
	v_fmac_f32_e32 v9, v22, v23
	v_fma_f32 v8, -v21, v9, v8
	v_div_scale_f32 v21, s[2:3], v18, v18, v12
	v_rcp_f32_e32 v22, v21
	v_div_fmas_f32 v8, v8, v23, v9
	v_div_fixup_f32 v11, v8, v18, v11
	;; [unrolled: 11-line block ×7, first 2 shown]
	v_fma_f32 v8, -v21, v23, 1.0
	v_fmac_f32_e32 v23, v8, v23
	v_div_scale_f32 v8, vcc, v17, v18, v17
	v_mul_f32_e32 v9, v8, v23
	v_fma_f32 v22, -v21, v9, v8
	v_fmac_f32_e32 v9, v22, v23
	v_fma_f32 v8, -v21, v9, v8
	v_div_fmas_f32 v8, v8, v23, v9
	v_div_fixup_f32 v17, v8, v18, v17
	.loc	1 50 30                         ; attention_fwd.py:50:30
	v_cvt_pk_f16_f32 v9, v2, v3
	v_cvt_pk_f16_f32 v8, v4, v5
	;; [unrolled: 1-line block ×6, first 2 shown]
	v_permlane32_swap_b32_e32 v9, v7
	v_permlane32_swap_b32_e32 v8, v6
	;; [unrolled: 1-line block ×4, first 2 shown]
	.loc	1 50 23 is_stmt 0               ; attention_fwd.py:50:23
	s_and_saveexec_b64 s[2:3], s[0:1]
	s_cbranch_execz .LBB0_312
; %bb.311:                              ; %.critedge
	.loc	1 20 54 is_stmt 1               ; attention_fwd.py:20:54
	v_lshrrev_b32_e32 v1, 2, v1
	v_readlane_b32 s0, v197, 2
	.loc	1 49 39                         ; attention_fwd.py:49:39
	v_mul_lo_u32 v0, v0, s86
	.loc	1 20 54                         ; attention_fwd.py:20:54
	s_nop 0
	v_or_b32_e32 v40, s0, v1
	v_or_b32_e32 v30, 5, v40
	.loc	1 49 21                         ; attention_fwd.py:49:21
	v_readlane_b32 s0, v197, 0
	v_ashrrev_i32_e32 v1, 31, v0
	v_readlane_b32 s1, v197, 1
	.loc	1 49 69 is_stmt 0               ; attention_fwd.py:49:69
	v_mul_lo_u32 v30, v30, s87
	.loc	1 49 51                         ; attention_fwd.py:49:51
	v_ashrrev_i32_e32 v31, 31, v30
	.loc	1 49 21                         ; attention_fwd.py:49:21
	v_lshl_add_u64 v[0:1], v[0:1], 1, s[0:1]
	.loc	1 49 51                         ; attention_fwd.py:49:51
	v_lshl_add_u64 v[32:33], v[30:31], 1, v[0:1]
	.loc	1 49 69                         ; attention_fwd.py:49:69
	v_subrev_u32_e32 v30, s87, v30
	.loc	1 49 51                         ; attention_fwd.py:49:51
	v_ashrrev_i32_e32 v31, 31, v30
	v_lshl_add_u64 v[34:35], v[30:31], 1, v[0:1]
	.loc	1 49 69                         ; attention_fwd.py:49:69
	v_subrev_u32_e32 v30, s87, v30
	.loc	1 49 51                         ; attention_fwd.py:49:51
	v_ashrrev_i32_e32 v31, 31, v30
	v_lshl_add_u64 v[36:37], v[30:31], 1, v[0:1]
	.loc	1 49 69                         ; attention_fwd.py:49:69
	v_subrev_u32_e32 v30, s87, v30
	.loc	1 20 54 is_stmt 1               ; attention_fwd.py:20:54
	v_or_b32_e32 v28, 6, v40
	v_or_b32_e32 v26, 7, v40
	;; [unrolled: 1-line block ×10, first 2 shown]
	.loc	1 49 51                         ; attention_fwd.py:49:51
	v_ashrrev_i32_e32 v31, 31, v30
	.loc	1 49 69 is_stmt 0               ; attention_fwd.py:49:69
	v_mul_lo_u32 v10, v10, s87
	v_mul_lo_u32 v12, v12, s87
	;; [unrolled: 1-line block ×10, first 2 shown]
	.loc	1 49 51                         ; attention_fwd.py:49:51
	v_lshl_add_u64 v[38:39], v[30:31], 1, v[0:1]
	.loc	1 49 69                         ; attention_fwd.py:49:69
	v_subrev_u32_e32 v30, s87, v30
	v_mul_lo_u32 v40, v40, s87
	.loc	1 49 51                         ; attention_fwd.py:49:51
	v_ashrrev_i32_e32 v11, 31, v10
	v_ashrrev_i32_e32 v13, 31, v12
	;; [unrolled: 1-line block ×12, first 2 shown]
	v_lshl_add_u64 v[10:11], v[10:11], 1, v[0:1]
	v_lshl_add_u64 v[12:13], v[12:13], 1, v[0:1]
	;; [unrolled: 1-line block ×12, first 2 shown]
	.loc	1 50 23 is_stmt 1               ; attention_fwd.py:50:23
	global_store_short v[0:1], v9, off
	global_store_short_d16_hi v[30:31], v9, off
	global_store_short v[38:39], v8, off
	global_store_short_d16_hi v[36:37], v8, off
	global_store_short v[34:35], v7, off
	global_store_short_d16_hi v[32:33], v7, off
	global_store_short v[28:29], v6, off
	global_store_short_d16_hi v[26:27], v6, off
	global_store_short v[24:25], v5, off
	global_store_short_d16_hi v[22:23], v5, off
	global_store_short v[20:21], v4, off
	global_store_short_d16_hi v[18:19], v4, off
	global_store_short v[16:17], v3, off
	global_store_short_d16_hi v[14:15], v3, off
	global_store_short v[12:13], v2, off
	global_store_short_d16_hi v[10:11], v2, off
.LBB0_312:                              ; %.critedge28
	.loc	1 50 4 is_stmt 0                ; attention_fwd.py:50:4
	s_endpgm
.Ltmp67:
	.section	.rodata,"a",@progbits
	.p2align	6, 0x0
	.amdhsa_kernel attention_fwd_kernel
		.amdhsa_group_segment_fixed_size 0
		.amdhsa_private_segment_fixed_size 0
		.amdhsa_kernarg_size 88
		.amdhsa_user_sgpr_count 16
		.amdhsa_user_sgpr_dispatch_ptr 0
		.amdhsa_user_sgpr_queue_ptr 0
		.amdhsa_user_sgpr_kernarg_segment_ptr 1
		.amdhsa_user_sgpr_dispatch_id 0
		.amdhsa_user_sgpr_kernarg_preload_length 14
		.amdhsa_user_sgpr_kernarg_preload_offset 0
		.amdhsa_user_sgpr_private_segment_size 0
		.amdhsa_uses_dynamic_stack 0
		.amdhsa_enable_private_segment 0
		.amdhsa_system_sgpr_workgroup_id_x 1
		.amdhsa_system_sgpr_workgroup_id_y 0
		.amdhsa_system_sgpr_workgroup_id_z 0
		.amdhsa_system_sgpr_workgroup_info 0
		.amdhsa_system_vgpr_workitem_id 0
		.amdhsa_next_free_vgpr 198
		.amdhsa_next_free_sgpr 100
		.amdhsa_accum_offset 200
		.amdhsa_reserve_vcc 1
		.amdhsa_reserve_xnack_mask 1
		.amdhsa_float_round_mode_32 0
		.amdhsa_float_round_mode_16_64 0
		.amdhsa_float_denorm_mode_32 3
		.amdhsa_float_denorm_mode_16_64 3
		.amdhsa_dx10_clamp 1
		.amdhsa_ieee_mode 1
		.amdhsa_fp16_overflow 0
		.amdhsa_tg_split 0
		.amdhsa_exception_fp_ieee_invalid_op 0
		.amdhsa_exception_fp_denorm_src 0
		.amdhsa_exception_fp_ieee_div_zero 0
		.amdhsa_exception_fp_ieee_overflow 0
		.amdhsa_exception_fp_ieee_underflow 0
		.amdhsa_exception_fp_ieee_inexact 0
		.amdhsa_exception_int_div_zero 0
	.end_amdhsa_kernel
	.text
.Lfunc_end0:
	.size	attention_fwd_kernel, .Lfunc_end0-attention_fwd_kernel
	.cfi_endproc
                                        ; -- End function
	.set attention_fwd_kernel.num_vgpr, 198
	.set attention_fwd_kernel.num_agpr, 0
	.set attention_fwd_kernel.numbered_sgpr, 100
	.set attention_fwd_kernel.num_named_barrier, 0
	.set attention_fwd_kernel.private_seg_size, 0
	.set attention_fwd_kernel.uses_vcc, 1
	.set attention_fwd_kernel.uses_flat_scratch, 0
	.set attention_fwd_kernel.has_dyn_sized_stack, 0
	.set attention_fwd_kernel.has_recursion, 0
	.set attention_fwd_kernel.has_indirect_call, 0
	.section	.AMDGPU.csdata,"",@progbits
; Kernel info:
; codeLenInByte = 24636
; TotalNumSgprs: 106
; NumVgprs: 198
; NumAgprs: 0
; TotalNumVgprs: 198
; ScratchSize: 0
; MemoryBound: 0
; FloatMode: 240
; IeeeMode: 1
; LDSByteSize: 0 bytes/workgroup (compile time only)
; SGPRBlocks: 13
; VGPRBlocks: 24
; NumSGPRsForWavesPerEU: 106
; NumVGPRsForWavesPerEU: 198
; AccumOffset: 200
; Occupancy: 2
; WaveLimiterHint : 0
; COMPUTE_PGM_RSRC2:SCRATCH_EN: 0
; COMPUTE_PGM_RSRC2:USER_SGPR: 16
; COMPUTE_PGM_RSRC2:TRAP_HANDLER: 0
; COMPUTE_PGM_RSRC2:TGID_X_EN: 1
; COMPUTE_PGM_RSRC2:TGID_Y_EN: 0
; COMPUTE_PGM_RSRC2:TGID_Z_EN: 0
; COMPUTE_PGM_RSRC2:TIDIG_COMP_CNT: 0
; COMPUTE_PGM_RSRC3_GFX90A:ACCUM_OFFSET: 49
; COMPUTE_PGM_RSRC3_GFX90A:TG_SPLIT: 0
	.text
	.p2alignl 6, 3212836864
	.fill 256, 4, 3212836864
	.section	.AMDGPU.gpr_maximums,"",@progbits
	.set amdgpu.max_num_vgpr, 0
	.set amdgpu.max_num_agpr, 0
	.set amdgpu.max_num_sgpr, 0
	.set amdgpu.max_num_named_barrier, 0
	.text
	.section	.debug_abbrev,"",@progbits
	.byte	1                               ; Abbreviation Code
	.byte	17                              ; DW_TAG_compile_unit
	.byte	1                               ; DW_CHILDREN_yes
	.byte	37                              ; DW_AT_producer
	.byte	14                              ; DW_FORM_strp
	.byte	19                              ; DW_AT_language
	.byte	5                               ; DW_FORM_data2
	.byte	3                               ; DW_AT_name
	.byte	14                              ; DW_FORM_strp
	.byte	16                              ; DW_AT_stmt_list
	.byte	23                              ; DW_FORM_sec_offset
	.byte	27                              ; DW_AT_comp_dir
	.byte	14                              ; DW_FORM_strp
	.byte	17                              ; DW_AT_low_pc
	.byte	1                               ; DW_FORM_addr
	.byte	18                              ; DW_AT_high_pc
	.byte	6                               ; DW_FORM_data4
	.byte	0                               ; EOM(1)
	.byte	0                               ; EOM(2)
	.byte	2                               ; Abbreviation Code
	.byte	46                              ; DW_TAG_subprogram
	.byte	0                               ; DW_CHILDREN_no
	.byte	3                               ; DW_AT_name
	.byte	14                              ; DW_FORM_strp
	.byte	32                              ; DW_AT_inline
	.byte	11                              ; DW_FORM_data1
	.byte	0                               ; EOM(1)
	.byte	0                               ; EOM(2)
	.byte	3                               ; Abbreviation Code
	.byte	46                              ; DW_TAG_subprogram
	.byte	1                               ; DW_CHILDREN_yes
	.byte	17                              ; DW_AT_low_pc
	.byte	1                               ; DW_FORM_addr
	.byte	18                              ; DW_AT_high_pc
	.byte	6                               ; DW_FORM_data4
	.byte	49                              ; DW_AT_abstract_origin
	.byte	19                              ; DW_FORM_ref4
	.byte	0                               ; EOM(1)
	.byte	0                               ; EOM(2)
	.byte	4                               ; Abbreviation Code
	.byte	29                              ; DW_TAG_inlined_subroutine
	.byte	1                               ; DW_CHILDREN_yes
	.byte	49                              ; DW_AT_abstract_origin
	.byte	19                              ; DW_FORM_ref4
	.byte	85                              ; DW_AT_ranges
	.byte	23                              ; DW_FORM_sec_offset
	.byte	88                              ; DW_AT_call_file
	.byte	11                              ; DW_FORM_data1
	.byte	89                              ; DW_AT_call_line
	.byte	11                              ; DW_FORM_data1
	.byte	87                              ; DW_AT_call_column
	.byte	11                              ; DW_FORM_data1
	.byte	0                               ; EOM(1)
	.byte	0                               ; EOM(2)
	.byte	5                               ; Abbreviation Code
	.byte	29                              ; DW_TAG_inlined_subroutine
	.byte	0                               ; DW_CHILDREN_no
	.byte	49                              ; DW_AT_abstract_origin
	.byte	19                              ; DW_FORM_ref4
	.byte	85                              ; DW_AT_ranges
	.byte	23                              ; DW_FORM_sec_offset
	.byte	88                              ; DW_AT_call_file
	.byte	11                              ; DW_FORM_data1
	.byte	89                              ; DW_AT_call_line
	.byte	11                              ; DW_FORM_data1
	.byte	87                              ; DW_AT_call_column
	.byte	11                              ; DW_FORM_data1
	.byte	0                               ; EOM(1)
	.byte	0                               ; EOM(2)
	.byte	6                               ; Abbreviation Code
	.byte	29                              ; DW_TAG_inlined_subroutine
	.byte	0                               ; DW_CHILDREN_no
	.byte	49                              ; DW_AT_abstract_origin
	.byte	19                              ; DW_FORM_ref4
	.byte	85                              ; DW_AT_ranges
	.byte	23                              ; DW_FORM_sec_offset
	.byte	88                              ; DW_AT_call_file
	.byte	11                              ; DW_FORM_data1
	.byte	89                              ; DW_AT_call_line
	.byte	5                               ; DW_FORM_data2
	.byte	87                              ; DW_AT_call_column
	.byte	11                              ; DW_FORM_data1
	.byte	0                               ; EOM(1)
	.byte	0                               ; EOM(2)
	;; [unrolled: 1-line block ×3, first 2 shown]
	.section	.debug_info,"",@progbits
.Lcu_begin0:
	.long	.Ldebug_info_end0-.Ldebug_info_start0 ; Length of Unit
.Ldebug_info_start0:
	.short	4                               ; DWARF version number
	.long	.debug_abbrev                   ; Offset Into Abbrev. Section
	.byte	8                               ; Address Size (in bytes)
	.byte	1                               ; Abbrev [1] 0xb:0x6b DW_TAG_compile_unit
	.long	.Linfo_string0                  ; DW_AT_producer
	.short	2                               ; DW_AT_language
	.long	.Linfo_string1                  ; DW_AT_name
	.long	.Lline_table_start0             ; DW_AT_stmt_list
	.long	.Linfo_string2                  ; DW_AT_comp_dir
	.quad	.Lfunc_begin0                   ; DW_AT_low_pc
	.long	.Lfunc_end0-.Lfunc_begin0       ; DW_AT_high_pc
	.byte	2                               ; Abbrev [2] 0x2a:0x6 DW_TAG_subprogram
	.long	.Linfo_string3                  ; DW_AT_name
	.byte	1                               ; DW_AT_inline
	.byte	3                               ; Abbrev [3] 0x30:0x45 DW_TAG_subprogram
	.quad	.Lfunc_begin0                   ; DW_AT_low_pc
	.long	.Lfunc_end0-.Lfunc_begin0       ; DW_AT_high_pc
	.long	42                              ; DW_AT_abstract_origin
	.byte	4                               ; Abbrev [4] 0x41:0x19 DW_TAG_inlined_subroutine
	.long	42                              ; DW_AT_abstract_origin
	.long	.Ldebug_ranges0                 ; DW_AT_ranges
	.byte	1                               ; DW_AT_call_file
	.byte	39                              ; DW_AT_call_line
	.byte	42                              ; DW_AT_call_column
	.byte	5                               ; Abbrev [5] 0x4d:0xc DW_TAG_inlined_subroutine
	.long	42                              ; DW_AT_abstract_origin
	.long	.Ldebug_ranges1                 ; DW_AT_ranges
	.byte	2                               ; DW_AT_call_file
	.byte	191                             ; DW_AT_call_line
	.byte	40                              ; DW_AT_call_column
	.byte	0                               ; End Of Children Mark
	.byte	4                               ; Abbrev [4] 0x5a:0x1a DW_TAG_inlined_subroutine
	.long	42                              ; DW_AT_abstract_origin
	.long	.Ldebug_ranges2                 ; DW_AT_ranges
	.byte	1                               ; DW_AT_call_file
	.byte	42                              ; DW_AT_call_line
	.byte	38                              ; DW_AT_call_column
	.byte	6                               ; Abbrev [6] 0x66:0xd DW_TAG_inlined_subroutine
	.long	42                              ; DW_AT_abstract_origin
	.long	.Ldebug_ranges3                 ; DW_AT_ranges
	.byte	2                               ; DW_AT_call_file
	.short	293                             ; DW_AT_call_line
	.byte	36                              ; DW_AT_call_column
	.byte	0                               ; End Of Children Mark
	.byte	0                               ; End Of Children Mark
	;; [unrolled: 1-line block ×3, first 2 shown]
.Ldebug_info_end0:
	.section	.debug_ranges,"",@progbits
.Ldebug_ranges0:
	.quad	.Ltmp2-.Lfunc_begin0
	.quad	.Ltmp4-.Lfunc_begin0
	;; [unrolled: 1-line block ×34, first 2 shown]
	.quad	0
	.quad	0
.Ldebug_ranges1:
	.quad	.Ltmp2-.Lfunc_begin0
	.quad	.Ltmp3-.Lfunc_begin0
	;; [unrolled: 1-line block ×34, first 2 shown]
	.quad	0
	.quad	0
.Ldebug_ranges2:
	.quad	.Ltmp5-.Lfunc_begin0
	.quad	.Ltmp6-.Lfunc_begin0
	;; [unrolled: 1-line block ×28, first 2 shown]
	.quad	0
	.quad	0
.Ldebug_ranges3:
	.quad	.Ltmp5-.Lfunc_begin0
	.quad	.Ltmp6-.Lfunc_begin0
	;; [unrolled: 1-line block ×16, first 2 shown]
	.quad	0
	.quad	0
	.section	.debug_str,"MS",@progbits,1
.Linfo_string0:
	.asciz	"triton"                        ; string offset=0
.Linfo_string1:
	.asciz	"attention_fwd.py"              ; string offset=7
.Linfo_string2:
	.asciz	"/root/src/amdgpu-assembly/repos/triton-lang__triton-aot" ; string offset=24
.Linfo_string3:
	.asciz	"attention_fwd_kernel"          ; string offset=80
	.section	".note.GNU-stack","",@progbits
	.amdgpu_metadata
---
amdhsa.kernels:
  - .agpr_count:     0
    .args:
      - .address_space:  global
        .offset:         0
        .size:           8
        .value_kind:     global_buffer
      - .address_space:  global
        .offset:         8
        .size:           8
        .value_kind:     global_buffer
      - .address_space:  global
        .offset:         16
        .size:           8
        .value_kind:     global_buffer
      - .address_space:  global
        .offset:         24
        .size:           8
        .value_kind:     global_buffer
      - .offset:         32
        .size:           4
        .value_kind:     by_value
      - .offset:         36
        .size:           4
        .value_kind:     by_value
      - .offset:         40
        .size:           4
        .value_kind:     by_value
      - .offset:         44
        .size:           4
        .value_kind:     by_value
      - .offset:         48
        .size:           4
        .value_kind:     by_value
      - .offset:         52
        .size:           4
        .value_kind:     by_value
      - .offset:         56
        .size:           4
        .value_kind:     by_value
      - .offset:         60
        .size:           4
        .value_kind:     by_value
      - .offset:         64
        .size:           4
        .value_kind:     by_value
      - .offset:         68
        .size:           4
        .value_kind:     by_value
      - .address_space:  global
        .offset:         72
        .size:           8
        .value_kind:     global_buffer
      - .address_space:  global
        .offset:         80
        .size:           8
        .value_kind:     global_buffer
    .group_segment_fixed_size: 0
    .kernarg_segment_align: 8
    .kernarg_segment_size: 88
    .max_flat_workgroup_size: 256
    .name:           attention_fwd_kernel
    .private_segment_fixed_size: 0
    .sgpr_count:     106
    .sgpr_spill_count: 101
    .symbol:         attention_fwd_kernel.kd
    .uniform_work_group_size: 1
    .uses_dynamic_stack: false
    .vgpr_count:     198
    .vgpr_spill_count: 0
    .wavefront_size: 64
amdhsa.target:   amdgcn-amd-amdhsa--gfx950
amdhsa.version:
  - 1
  - 2
...

	.end_amdgpu_metadata
	.section	.debug_line,"",@progbits
.Lline_table_start0:
